;; amdgpu-corpus repo=ROCm/rocFFT kind=compiled arch=gfx1030 opt=O3
	.text
	.amdgcn_target "amdgcn-amd-amdhsa--gfx1030"
	.amdhsa_code_object_version 6
	.protected	bluestein_single_back_len312_dim1_dp_op_CI_CI ; -- Begin function bluestein_single_back_len312_dim1_dp_op_CI_CI
	.globl	bluestein_single_back_len312_dim1_dp_op_CI_CI
	.p2align	8
	.type	bluestein_single_back_len312_dim1_dp_op_CI_CI,@function
bluestein_single_back_len312_dim1_dp_op_CI_CI: ; @bluestein_single_back_len312_dim1_dp_op_CI_CI
; %bb.0:
	s_load_dwordx4 s[0:3], s[4:5], 0x28
	v_mul_u32_u24_e32 v1, 0x9d9, v0
	v_mov_b32_e32 v133, 0
	v_lshrrev_b32_e32 v1, 16, v1
	v_lshl_add_u32 v132, s6, 1, v1
	s_waitcnt lgkmcnt(0)
	v_cmp_gt_u64_e32 vcc_lo, s[0:1], v[132:133]
	s_and_saveexec_b32 s0, vcc_lo
	s_cbranch_execz .LBB0_15
; %bb.1:
	v_mul_lo_u16 v2, v1, 26
	s_clause 0x1
	s_load_dwordx2 s[14:15], s[4:5], 0x0
	s_load_dwordx2 s[12:13], s[4:5], 0x38
	v_and_b32_e32 v1, 1, v1
	v_sub_nc_u16 v0, v0, v2
	v_cmp_eq_u32_e32 vcc_lo, 1, v1
	v_and_b32_e32 v138, 0xffff, v0
	v_cndmask_b32_e64 v139, 0, 0x138, vcc_lo
	v_cmp_gt_u16_e32 vcc_lo, 24, v0
	v_lshlrev_b32_e32 v140, 4, v138
	v_or_b32_e32 v137, 0x60, v138
	v_lshlrev_b32_e32 v141, 4, v139
	v_or_b32_e32 v136, 0xc0, v138
	v_or_b32_e32 v135, 0x120, v138
	s_and_saveexec_b32 s1, vcc_lo
	s_cbranch_execz .LBB0_3
; %bb.2:
	s_load_dwordx2 s[6:7], s[4:5], 0x18
	s_waitcnt lgkmcnt(0)
	v_add_co_u32 v34, s0, s14, v140
	v_add_co_ci_u32_e64 v35, null, s15, 0, s0
	v_lshlrev_b32_e32 v24, 4, v136
	v_add_co_u32 v88, s0, 0x800, v34
	v_add_co_ci_u32_e64 v89, s0, 0, v35, s0
	v_add_co_u32 v96, s0, 0x1000, v34
	v_add_co_ci_u32_e64 v97, s0, 0, v35, s0
	v_lshlrev_b32_e32 v28, 4, v135
	s_load_dwordx4 s[8:11], s[6:7], 0x0
	s_clause 0x7
	global_load_dwordx4 v[0:3], v140, s[14:15]
	global_load_dwordx4 v[4:7], v140, s[14:15] offset:384
	global_load_dwordx4 v[8:11], v140, s[14:15] offset:768
	;; [unrolled: 1-line block ×5, first 2 shown]
	global_load_dwordx4 v[24:27], v24, s[14:15]
	global_load_dwordx4 v[28:31], v28, s[14:15]
	s_waitcnt lgkmcnt(0)
	v_mad_u64_u32 v[32:33], null, s10, v132, 0
	v_mad_u64_u32 v[34:35], null, s8, v138, 0
	v_mad_u64_u32 v[36:37], null, s8, v137, 0
	s_mul_i32 s0, s9, 0x180
	s_mul_hi_u32 s6, s8, 0x180
	v_mad_u64_u32 v[38:39], null, s8, v136, 0
	v_mad_u64_u32 v[40:41], null, s11, v132, v[33:34]
	;; [unrolled: 1-line block ×4, first 2 shown]
	s_add_i32 s6, s6, s0
	s_mul_i32 s7, s8, 0x180
	v_mov_b32_e32 v33, v40
	s_mul_i32 s10, s9, 0x300
	v_mov_b32_e32 v35, v43
	v_mov_b32_e32 v40, v42
	v_lshlrev_b64 v[32:33], 4, v[32:33]
	v_mad_u64_u32 v[42:43], null, s9, v137, v[37:38]
	v_lshlrev_b64 v[34:35], 4, v[34:35]
	v_mad_u64_u32 v[43:44], null, s9, v136, v[39:40]
	v_add_co_u32 v46, s0, s2, v32
	v_add_co_ci_u32_e64 v47, s0, s3, v33, s0
	v_mad_u64_u32 v[32:33], null, s9, v135, v[40:41]
	v_add_co_u32 v33, s0, v46, v34
	v_add_co_ci_u32_e64 v34, s0, v47, v35, s0
	v_mov_b32_e32 v37, v42
	v_add_co_u32 v56, s0, v33, s7
	v_add_co_ci_u32_e64 v57, s0, s6, v34, s0
	v_mov_b32_e32 v39, v43
	v_add_co_u32 v60, s0, v56, s7
	v_add_co_ci_u32_e64 v61, s0, s6, v57, s0
	v_lshlrev_b64 v[35:36], 4, v[36:37]
	v_add_co_u32 v64, s0, v60, s7
	v_add_co_ci_u32_e64 v65, s0, s6, v61, s0
	v_mov_b32_e32 v42, v32
	v_lshlrev_b64 v[37:38], 4, v[38:39]
	v_mad_u64_u32 v[68:69], null, 0x300, s8, v[64:65]
	v_lshlrev_b64 v[40:41], 4, v[41:42]
	v_add_co_u32 v42, s0, v46, v35
	v_add_co_ci_u32_e64 v43, s0, v47, v36, s0
	v_add_co_u32 v44, s0, v46, v37
	v_add_nc_u32_e32 v69, s10, v69
	v_add_co_ci_u32_e64 v45, s0, v47, v38, s0
	v_add_co_u32 v72, s0, v68, s7
	v_add_co_ci_u32_e64 v73, s0, s6, v69, s0
	s_clause 0x1
	global_load_dwordx4 v[32:35], v[33:34], off
	global_load_dwordx4 v[36:39], v[42:43], off
	v_add_co_u32 v76, s0, v72, s7
	v_add_co_ci_u32_e64 v77, s0, s6, v73, s0
	v_add_co_u32 v52, s0, v46, v40
	v_add_co_ci_u32_e64 v53, s0, v47, v41, s0
	v_mad_u64_u32 v[80:81], null, 0x300, s8, v[76:77]
	global_load_dwordx4 v[40:43], v[44:45], off
	s_clause 0x1
	global_load_dwordx4 v[44:47], v[88:89], off offset:256
	global_load_dwordx4 v[48:51], v[88:89], off offset:640
	s_clause 0x4
	global_load_dwordx4 v[52:55], v[52:53], off
	global_load_dwordx4 v[56:59], v[56:57], off
	;; [unrolled: 1-line block ×7, first 2 shown]
	v_add_nc_u32_e32 v81, s10, v81
	v_add_co_u32 v92, s0, v80, s7
	v_add_co_ci_u32_e64 v93, s0, s6, v81, s0
	v_add_co_u32 v100, s0, v92, s7
	global_load_dwordx4 v[80:83], v[80:81], off
	v_add_co_ci_u32_e64 v101, s0, s6, v93, s0
	s_clause 0x1
	global_load_dwordx4 v[84:87], v[88:89], off offset:1408
	global_load_dwordx4 v[88:91], v[88:89], off offset:1792
	global_load_dwordx4 v[92:95], v[92:93], off
	global_load_dwordx4 v[96:99], v[96:97], off offset:128
	global_load_dwordx4 v[100:103], v[100:101], off
	s_waitcnt vmcnt(17)
	v_mul_f64 v[104:105], v[34:35], v[2:3]
	v_mul_f64 v[2:3], v[32:33], v[2:3]
	s_waitcnt vmcnt(16)
	v_mul_f64 v[106:107], v[38:39], v[18:19]
	v_mul_f64 v[18:19], v[36:37], v[18:19]
	s_waitcnt vmcnt(12)
	v_mul_f64 v[110:111], v[54:55], v[30:31]
	s_waitcnt vmcnt(11)
	v_mul_f64 v[114:115], v[58:59], v[6:7]
	v_mul_f64 v[116:117], v[56:57], v[6:7]
	s_waitcnt vmcnt(10)
	v_mul_f64 v[118:119], v[62:63], v[10:11]
	v_mul_f64 v[108:109], v[42:43], v[26:27]
	;; [unrolled: 1-line block ×4, first 2 shown]
	s_waitcnt vmcnt(9)
	v_mul_f64 v[120:121], v[66:67], v[14:15]
	v_mul_f64 v[122:123], v[64:65], v[14:15]
	;; [unrolled: 1-line block ×3, first 2 shown]
	s_waitcnt vmcnt(7)
	v_mul_f64 v[124:125], v[74:75], v[46:47]
	v_mul_f64 v[46:47], v[72:73], v[46:47]
	s_waitcnt vmcnt(6)
	v_mul_f64 v[126:127], v[78:79], v[50:51]
	v_mul_f64 v[50:51], v[76:77], v[50:51]
	v_fma_f64 v[30:31], v[32:33], v[0:1], v[104:105]
	v_fma_f64 v[32:33], v[34:35], v[0:1], -v[2:3]
	v_fma_f64 v[0:1], v[36:37], v[16:17], v[106:107]
	v_mul_f64 v[104:105], v[70:71], v[22:23]
	v_mul_f64 v[106:107], v[68:69], v[22:23]
	s_waitcnt vmcnt(4)
	v_mul_f64 v[128:129], v[82:83], v[86:87]
	v_mul_f64 v[86:87], v[80:81], v[86:87]
	s_waitcnt vmcnt(2)
	;; [unrolled: 3-line block ×3, first 2 shown]
	v_mul_f64 v[133:134], v[102:103], v[98:99]
	v_mul_f64 v[98:99], v[100:101], v[98:99]
	v_fma_f64 v[2:3], v[38:39], v[16:17], -v[18:19]
	v_fma_f64 v[14:15], v[40:41], v[24:25], v[108:109]
	v_fma_f64 v[16:17], v[42:43], v[24:25], -v[26:27]
	v_fma_f64 v[22:23], v[56:57], v[4:5], v[114:115]
	;; [unrolled: 2-line block ×7, first 2 shown]
	v_fma_f64 v[18:19], v[68:69], v[20:21], v[104:105]
	v_fma_f64 v[20:21], v[70:71], v[20:21], -v[106:107]
	v_fma_f64 v[46:47], v[80:81], v[84:85], v[128:129]
	v_fma_f64 v[48:49], v[82:83], v[84:85], -v[86:87]
	;; [unrolled: 2-line block ×4, first 2 shown]
	v_fma_f64 v[8:9], v[54:55], v[28:29], -v[112:113]
	v_lshl_add_u32 v4, v138, 4, v141
	v_add_nc_u32_e32 v5, v141, v140
	ds_write_b128 v4, v[30:33]
	ds_write_b128 v5, v[0:3] offset:1536
	ds_write_b128 v5, v[14:17] offset:3072
	;; [unrolled: 1-line block ×12, first 2 shown]
.LBB0_3:
	s_or_b32 exec_lo, exec_lo, s1
	s_clause 0x1
	s_load_dwordx2 s[0:1], s[4:5], 0x20
	s_load_dwordx2 s[2:3], s[4:5], 0x8
	s_waitcnt lgkmcnt(0)
	s_barrier
	buffer_gl0_inv
                                        ; implicit-def: $vgpr12_vgpr13
                                        ; implicit-def: $vgpr44_vgpr45
                                        ; implicit-def: $vgpr36_vgpr37
                                        ; implicit-def: $vgpr28_vgpr29
                                        ; implicit-def: $vgpr24_vgpr25
                                        ; implicit-def: $vgpr8_vgpr9
                                        ; implicit-def: $vgpr4_vgpr5
                                        ; implicit-def: $vgpr16_vgpr17
                                        ; implicit-def: $vgpr20_vgpr21
                                        ; implicit-def: $vgpr32_vgpr33
                                        ; implicit-def: $vgpr40_vgpr41
                                        ; implicit-def: $vgpr48_vgpr49
                                        ; implicit-def: $vgpr52_vgpr53
	s_and_saveexec_b32 s4, vcc_lo
	s_cbranch_execz .LBB0_5
; %bb.4:
	v_lshl_add_u32 v0, v139, 4, v140
	ds_read_b128 v[12:15], v0
	ds_read_b128 v[52:55], v0 offset:384
	ds_read_b128 v[48:51], v0 offset:768
	;; [unrolled: 1-line block ×12, first 2 shown]
.LBB0_5:
	s_or_b32 exec_lo, exec_lo, s4
	s_waitcnt lgkmcnt(0)
	v_add_f64 v[124:125], v[54:55], -v[6:7]
	v_add_f64 v[116:117], v[52:53], -v[4:5]
	s_mov_b32 s4, 0x4267c47c
	s_mov_b32 s5, 0xbfddbe06
	v_add_f64 v[114:115], v[4:5], v[52:53]
	v_add_f64 v[126:127], v[6:7], v[54:55]
	v_add_f64 v[74:75], v[50:51], -v[10:11]
	v_add_f64 v[66:67], v[48:49], -v[8:9]
	s_mov_b32 s6, 0xe00740e9
	s_mov_b32 s8, 0x42a4c3d2
	;; [unrolled: 1-line block ×4, first 2 shown]
	v_add_f64 v[56:57], v[8:9], v[48:49]
	v_add_f64 v[88:89], v[10:11], v[50:51]
	v_add_f64 v[78:79], v[46:47], -v[18:19]
	v_add_f64 v[72:73], v[44:45], -v[16:17]
	s_mov_b32 s10, 0x1ea71119
	s_mov_b32 s16, 0x66966769
	;; [unrolled: 1-line block ×4, first 2 shown]
	v_add_f64 v[60:61], v[44:45], v[16:17]
	v_add_f64 v[106:107], v[46:47], v[18:19]
	v_mul_f64 v[120:121], v[124:125], s[4:5]
	v_mul_f64 v[122:123], v[116:117], s[4:5]
	v_add_f64 v[58:59], v[36:37], -v[20:21]
	v_add_f64 v[80:81], v[38:39], -v[22:23]
	s_mov_b32 s18, 0xebaa3ed8
	s_mov_b32 s24, 0x2ef20147
	v_mul_f64 v[82:83], v[74:75], s[8:9]
	v_mul_f64 v[84:85], v[66:67], s[8:9]
	s_mov_b32 s19, 0x3fbedb7d
	s_mov_b32 s25, 0xbfedeba7
	v_add_f64 v[62:63], v[36:37], v[20:21]
	v_add_f64 v[96:97], v[38:39], v[22:23]
	v_add_f64 v[64:65], v[40:41], -v[24:25]
	v_add_f64 v[98:99], v[42:43], -v[26:27]
	v_mul_f64 v[86:87], v[78:79], s[16:17]
	v_mul_f64 v[92:93], v[72:73], s[16:17]
	s_mov_b32 s26, 0xb2365da1
	s_mov_b32 s20, 0x24c2f84
	s_mov_b32 s27, 0xbfd6b1d8
	s_mov_b32 s21, 0xbfe5384d
	v_add_f64 v[112:113], v[26:27], v[42:43]
	v_add_f64 v[110:111], v[34:35], -v[30:31]
	v_fma_f64 v[0:1], v[114:115], s[6:7], v[120:121]
	v_fma_f64 v[2:3], v[126:127], s[6:7], -v[122:123]
	v_mul_f64 v[100:101], v[58:59], s[24:25]
	v_mul_f64 v[90:91], v[80:81], s[24:25]
	s_mov_b32 s22, 0xd0032e0c
	s_mov_b32 s30, 0x4bc48dbf
	v_fma_f64 v[68:69], v[56:57], s[10:11], v[82:83]
	v_fma_f64 v[70:71], v[88:89], s[10:11], -v[84:85]
	s_mov_b32 s23, 0xbfe7f3cc
	s_mov_b32 s31, 0xbfcea1e5
	v_add_f64 v[118:119], v[30:31], v[34:35]
	s_mov_b32 s28, 0x93053d00
	v_mul_f64 v[108:109], v[64:65], s[20:21]
	v_mul_f64 v[102:103], v[98:99], s[20:21]
	v_fma_f64 v[76:77], v[60:61], s[18:19], v[86:87]
	v_fma_f64 v[94:95], v[106:107], s[18:19], -v[92:93]
	s_mov_b32 s29, 0xbfef11f4
	s_barrier
	buffer_gl0_inv
	v_add_f64 v[0:1], v[12:13], v[0:1]
	v_add_f64 v[2:3], v[14:15], v[2:3]
	v_fma_f64 v[130:131], v[96:97], s[26:27], -v[100:101]
	v_fma_f64 v[128:129], v[62:63], s[26:27], v[90:91]
	v_fma_f64 v[142:143], v[112:113], s[22:23], -v[108:109]
	v_add_f64 v[0:1], v[68:69], v[0:1]
	v_add_f64 v[2:3], v[70:71], v[2:3]
	v_add_f64 v[68:69], v[24:25], v[40:41]
	v_add_f64 v[70:71], v[32:33], -v[28:29]
	v_add_f64 v[0:1], v[76:77], v[0:1]
	v_add_f64 v[2:3], v[94:95], v[2:3]
	;; [unrolled: 1-line block ×3, first 2 shown]
	v_mul_f64 v[94:95], v[110:111], s[30:31]
	v_mul_f64 v[104:105], v[70:71], s[30:31]
	v_fma_f64 v[133:134], v[68:69], s[22:23], v[102:103]
	v_add_f64 v[0:1], v[128:129], v[0:1]
	v_add_f64 v[2:3], v[130:131], v[2:3]
	v_fma_f64 v[128:129], v[76:77], s[28:29], v[94:95]
	v_fma_f64 v[130:131], v[118:119], s[28:29], -v[104:105]
	v_add_f64 v[0:1], v[133:134], v[0:1]
	v_add_f64 v[2:3], v[142:143], v[2:3]
	v_mul_lo_u16 v142, v138, 13
	v_add_f64 v[0:1], v[128:129], v[0:1]
	v_add_f64 v[2:3], v[130:131], v[2:3]
	s_and_saveexec_b32 s33, vcc_lo
	s_cbranch_execz .LBB0_7
; %bb.6:
	v_mul_f64 v[133:134], v[124:125], s[30:31]
	s_mov_b32 s35, 0x3fddbe06
	s_mov_b32 s34, s4
	v_mul_f64 v[128:129], v[126:127], s[28:29]
	v_mul_f64 v[155:156], v[74:75], s[34:35]
	s_mov_b32 s37, 0x3fcea1e5
	s_mov_b32 s36, s30
	v_add_f64 v[54:55], v[14:15], v[54:55]
	v_add_f64 v[52:53], v[12:13], v[52:53]
	v_mul_f64 v[130:131], v[88:89], s[6:7]
	v_mul_f64 v[145:146], v[78:79], s[20:21]
	;; [unrolled: 1-line block ×5, first 2 shown]
	s_mov_b32 s39, 0x3fe5384d
	s_mov_b32 s41, 0x3fea55e2
	;; [unrolled: 1-line block ×8, first 2 shown]
	v_fma_f64 v[159:160], v[114:115], s[28:29], v[133:134]
	v_mul_f64 v[143:144], v[106:107], s[22:23]
	v_mul_f64 v[165:166], v[88:89], s[18:19]
	v_fma_f64 v[157:158], v[116:117], s[36:37], v[128:129]
	v_fma_f64 v[193:194], v[56:57], s[6:7], v[155:156]
	v_mul_f64 v[169:170], v[88:89], s[22:23]
	v_mul_f64 v[171:172], v[124:125], s[24:25]
	v_add_f64 v[50:51], v[50:51], v[54:55]
	v_add_f64 v[48:49], v[48:49], v[52:53]
	v_mul_f64 v[187:188], v[80:81], s[40:41]
	v_fma_f64 v[191:192], v[66:67], s[4:5], v[130:131]
	v_mul_f64 v[195:196], v[74:75], s[42:43]
	v_fma_f64 v[128:129], v[116:117], s[30:31], v[128:129]
	v_fma_f64 v[133:134], v[114:115], s[28:29], -v[133:134]
	v_fma_f64 v[52:53], v[116:117], s[38:39], v[161:162]
	v_fma_f64 v[54:55], v[114:115], s[22:23], v[163:164]
	;; [unrolled: 1-line block ×4, first 2 shown]
	v_fma_f64 v[163:164], v[114:115], s[22:23], -v[163:164]
	v_fma_f64 v[217:218], v[116:117], s[44:45], v[167:168]
	v_mul_f64 v[147:148], v[96:97], s[10:11]
	v_mul_f64 v[151:152], v[98:99], s[24:25]
	v_add_f64 v[159:160], v[12:13], v[159:160]
	v_mul_f64 v[173:174], v[106:107], s[10:11]
	v_mul_f64 v[175:176], v[78:79], s[8:9]
	v_add_f64 v[157:158], v[14:15], v[157:158]
	v_mul_f64 v[177:178], v[106:107], s[6:7]
	v_mul_f64 v[197:198], v[74:75], s[38:39]
	v_fma_f64 v[205:206], v[72:73], s[38:39], v[143:144]
	v_add_f64 v[46:47], v[46:47], v[50:51]
	v_add_f64 v[44:45], v[44:45], v[48:49]
	v_fma_f64 v[130:131], v[66:67], s[34:35], v[130:131]
	v_fma_f64 v[155:156], v[56:57], s[6:7], -v[155:156]
	v_fma_f64 v[219:220], v[62:63], s[10:11], v[187:188]
	v_add_f64 v[128:129], v[14:15], v[128:129]
	v_add_f64 v[133:134], v[12:13], v[133:134]
	;; [unrolled: 1-line block ×4, first 2 shown]
	v_fma_f64 v[52:53], v[66:67], s[20:21], v[169:170]
	v_fma_f64 v[54:55], v[114:115], s[26:27], v[171:172]
	v_add_f64 v[161:162], v[14:15], v[161:162]
	v_add_f64 v[163:164], v[12:13], v[163:164]
	;; [unrolled: 1-line block ×3, first 2 shown]
	v_mul_f64 v[149:150], v[112:113], s[26:27]
	v_add_f64 v[159:160], v[193:194], v[159:160]
	v_fma_f64 v[193:194], v[56:57], s[18:19], v[195:196]
	v_fma_f64 v[195:196], v[56:57], s[18:19], -v[195:196]
	v_add_f64 v[157:158], v[191:192], v[157:158]
	v_fma_f64 v[191:192], v[66:67], s[16:17], v[165:166]
	v_fma_f64 v[165:166], v[66:67], s[42:43], v[165:166]
	v_mul_f64 v[179:180], v[96:97], s[28:29]
	v_add_f64 v[38:39], v[38:39], v[46:47]
	v_add_f64 v[36:37], v[36:37], v[44:45]
	v_mul_f64 v[181:182], v[96:97], s[18:19]
	v_mul_f64 v[189:190], v[110:111], s[42:43]
	;; [unrolled: 1-line block ×3, first 2 shown]
	v_fma_f64 v[209:210], v[58:59], s[8:9], v[147:148]
	v_fma_f64 v[213:214], v[68:69], s[26:27], v[151:152]
	;; [unrolled: 1-line block ×3, first 2 shown]
	v_fma_f64 v[145:146], v[60:61], s[22:23], -v[145:146]
	v_fma_f64 v[221:222], v[72:73], s[4:5], v[177:178]
	v_add_f64 v[128:129], v[130:131], v[128:129]
	v_add_f64 v[130:131], v[155:156], v[133:134]
	v_fma_f64 v[155:156], v[56:57], s[22:23], v[197:198]
	v_add_f64 v[54:55], v[12:13], v[54:55]
	v_add_f64 v[52:53], v[52:53], v[217:218]
	;; [unrolled: 1-line block ×3, first 2 shown]
	v_fma_f64 v[207:208], v[60:61], s[10:11], v[175:176]
	v_fma_f64 v[175:176], v[60:61], s[10:11], -v[175:176]
	v_add_f64 v[157:158], v[205:206], v[157:158]
	v_fma_f64 v[205:206], v[72:73], s[40:41], v[173:174]
	v_fma_f64 v[173:174], v[72:73], s[8:9], v[173:174]
	v_add_f64 v[44:45], v[191:192], v[48:49]
	v_add_f64 v[46:47], v[193:194], v[50:51]
	;; [unrolled: 1-line block ×4, first 2 shown]
	v_fma_f64 v[165:166], v[116:117], s[24:25], v[167:168]
	v_fma_f64 v[167:168], v[114:115], s[26:27], -v[171:172]
	v_mul_f64 v[199:200], v[78:79], s[34:35]
	v_add_f64 v[38:39], v[42:43], v[38:39]
	v_add_f64 v[36:37], v[40:41], v[36:37]
	v_mul_f64 v[153:154], v[118:119], s[18:19]
	v_mul_f64 v[183:184], v[112:113], s[6:7]
	;; [unrolled: 1-line block ×3, first 2 shown]
	v_fma_f64 v[211:212], v[64:65], s[44:45], v[149:150]
	v_fma_f64 v[48:49], v[58:59], s[40:41], v[147:148]
	;; [unrolled: 1-line block ×4, first 2 shown]
	v_add_f64 v[159:160], v[219:220], v[159:160]
	v_fma_f64 v[147:148], v[58:59], s[42:43], v[181:182]
	v_fma_f64 v[171:172], v[62:63], s[10:11], -v[187:188]
	v_add_f64 v[157:158], v[209:210], v[157:158]
	v_fma_f64 v[179:180], v[62:63], s[28:29], v[201:202]
	v_add_f64 v[128:129], v[143:144], v[128:129]
	v_add_f64 v[130:131], v[145:146], v[130:131]
	;; [unrolled: 1-line block ×4, first 2 shown]
	v_fma_f64 v[46:47], v[66:67], s[38:39], v[169:170]
	v_fma_f64 v[143:144], v[76:77], s[18:19], v[189:190]
	v_add_f64 v[54:55], v[155:156], v[54:55]
	v_add_f64 v[155:156], v[173:174], v[161:162]
	;; [unrolled: 1-line block ×5, first 2 shown]
	v_fma_f64 v[165:166], v[56:57], s[22:23], -v[197:198]
	v_add_f64 v[167:168], v[12:13], v[167:168]
	v_fma_f64 v[44:45], v[68:69], s[26:27], -v[151:152]
	v_fma_f64 v[145:146], v[60:61], s[6:7], v[199:200]
	v_fma_f64 v[151:152], v[62:63], s[28:29], -v[201:202]
	v_add_f64 v[38:39], v[34:35], v[38:39]
	v_add_f64 v[159:160], v[213:214], v[159:160]
	;; [unrolled: 1-line block ×3, first 2 shown]
	v_mul_f64 v[185:186], v[126:127], s[18:19]
	v_fma_f64 v[215:216], v[70:71], s[16:17], v[153:154]
	v_fma_f64 v[149:150], v[64:65], s[24:25], v[149:150]
	v_add_f64 v[157:158], v[211:212], v[157:158]
	v_fma_f64 v[169:170], v[64:65], s[4:5], v[183:184]
	v_fma_f64 v[173:174], v[68:69], s[6:7], v[203:204]
	v_add_f64 v[48:49], v[48:49], v[128:129]
	v_add_f64 v[128:129], v[171:172], v[130:131]
	;; [unrolled: 1-line block ×4, first 2 shown]
	v_mul_f64 v[50:51], v[124:125], s[16:17]
	v_mul_f64 v[130:131], v[126:127], s[10:11]
	;; [unrolled: 1-line block ×4, first 2 shown]
	v_add_f64 v[133:134], v[133:134], v[155:156]
	v_add_f64 v[52:53], v[147:148], v[52:53]
	;; [unrolled: 1-line block ×4, first 2 shown]
	v_fma_f64 v[155:156], v[60:61], s[6:7], -v[199:200]
	v_mul_f64 v[171:172], v[114:115], s[6:7]
	v_add_f64 v[32:33], v[143:144], v[159:160]
	v_fma_f64 v[143:144], v[72:73], s[34:35], v[177:178]
	v_add_f64 v[54:55], v[145:146], v[54:55]
	v_add_f64 v[145:146], v[151:152], v[161:162]
	v_mul_f64 v[151:152], v[80:81], s[16:17]
	v_add_f64 v[30:31], v[30:31], v[38:39]
	v_add_f64 v[28:29], v[28:29], v[36:37]
	;; [unrolled: 1-line block ×7, first 2 shown]
	v_fma_f64 v[40:41], v[116:117], s[42:43], v[185:186]
	v_fma_f64 v[42:43], v[114:115], s[18:19], v[50:51]
	;; [unrolled: 1-line block ×3, first 2 shown]
	v_fma_f64 v[50:51], v[114:115], s[18:19], -v[50:51]
	v_fma_f64 v[149:150], v[116:117], s[40:41], v[130:131]
	v_fma_f64 v[157:158], v[114:115], s[10:11], v[124:125]
	v_mul_f64 v[159:160], v[88:89], s[28:29]
	v_fma_f64 v[116:117], v[116:117], s[8:9], v[130:131]
	v_add_f64 v[122:123], v[122:123], v[126:127]
	v_fma_f64 v[114:115], v[114:115], s[10:11], -v[124:125]
	v_add_f64 v[120:121], v[171:172], -v[120:121]
	v_add_f64 v[46:47], v[143:144], v[46:47]
	v_add_f64 v[143:144], v[155:156], v[147:148]
	v_fma_f64 v[147:148], v[58:59], s[16:17], v[181:182]
	v_mul_f64 v[155:156], v[74:75], s[30:31]
	v_fma_f64 v[124:125], v[64:65], s[34:35], v[183:184]
	v_fma_f64 v[130:131], v[62:63], s[18:19], v[151:152]
	v_add_f64 v[26:27], v[26:27], v[30:31]
	v_add_f64 v[24:25], v[24:25], v[28:29]
	v_mul_f64 v[28:29], v[98:99], s[36:37]
	v_fma_f64 v[30:31], v[62:63], s[18:19], -v[151:152]
	v_mul_f64 v[126:127], v[112:113], s[28:29]
	v_add_f64 v[40:41], v[14:15], v[40:41]
	v_add_f64 v[42:43], v[12:13], v[42:43]
	;; [unrolled: 1-line block ×6, first 2 shown]
	v_fma_f64 v[157:158], v[66:67], s[36:37], v[159:160]
	v_add_f64 v[116:117], v[14:15], v[116:117]
	v_add_f64 v[14:15], v[14:15], v[122:123]
	v_fma_f64 v[122:123], v[66:67], s[30:31], v[159:160]
	v_mul_f64 v[159:160], v[78:79], s[44:45]
	v_add_f64 v[114:115], v[12:13], v[114:115]
	v_add_f64 v[12:13], v[12:13], v[120:121]
	;; [unrolled: 1-line block ×3, first 2 shown]
	v_fma_f64 v[147:148], v[56:57], s[28:29], -v[155:156]
	v_fma_f64 v[120:121], v[68:69], s[6:7], -v[203:204]
	v_add_f64 v[54:55], v[130:131], v[54:55]
	v_add_f64 v[22:23], v[22:23], v[26:27]
	v_mul_f64 v[163:164], v[88:89], s[26:27]
	v_fma_f64 v[26:27], v[68:69], s[28:29], v[28:29]
	v_add_f64 v[20:21], v[20:21], v[24:25]
	v_add_f64 v[24:25], v[30:31], v[143:144]
	v_fma_f64 v[28:29], v[68:69], s[28:29], -v[28:29]
	v_add_f64 v[30:31], v[124:125], v[133:134]
	v_mul_f64 v[124:125], v[56:57], s[10:11]
	v_mul_f64 v[88:89], v[88:89], s[10:11]
	;; [unrolled: 1-line block ×4, first 2 shown]
	v_fma_f64 v[130:131], v[64:65], s[30:31], v[126:127]
	v_fma_f64 v[126:127], v[64:65], s[36:37], v[126:127]
	v_add_f64 v[40:41], v[157:158], v[40:41]
	v_add_f64 v[122:123], v[122:123], v[128:129]
	v_mul_f64 v[128:129], v[60:61], s[18:19]
	v_mul_f64 v[78:79], v[78:79], s[30:31]
	v_fma_f64 v[143:144], v[56:57], s[28:29], v[155:156]
	v_fma_f64 v[153:154], v[70:71], s[42:43], v[153:154]
	v_add_f64 v[50:51], v[147:148], v[50:51]
	v_fma_f64 v[147:148], v[60:61], s[26:27], -v[159:160]
	v_add_f64 v[120:121], v[120:121], v[145:146]
	v_mul_f64 v[145:146], v[106:107], s[18:19]
	v_mul_f64 v[106:107], v[106:107], s[28:29]
	v_add_f64 v[54:55], v[26:27], v[54:55]
	v_fma_f64 v[26:27], v[66:67], s[44:45], v[163:164]
	v_fma_f64 v[159:160], v[60:61], s[26:27], v[159:160]
	v_add_f64 v[157:158], v[28:29], v[24:25]
	v_fma_f64 v[28:29], v[66:67], s[24:25], v[163:164]
	v_add_f64 v[82:83], v[124:125], -v[82:83]
	v_add_f64 v[84:85], v[84:85], v[88:89]
	v_mul_f64 v[24:25], v[68:69], s[22:23]
	v_fma_f64 v[133:134], v[72:73], s[24:25], v[161:162]
	v_fma_f64 v[155:156], v[72:73], s[44:45], v[161:162]
	v_add_f64 v[52:53], v[130:131], v[52:53]
	v_mul_f64 v[130:131], v[62:63], s[26:27]
	v_add_f64 v[46:47], v[126:127], v[46:47]
	v_mul_f64 v[126:127], v[96:97], s[26:27]
	v_add_f64 v[86:87], v[128:129], -v[86:87]
	v_add_f64 v[42:43], v[143:144], v[42:43]
	v_mul_f64 v[143:144], v[112:113], s[22:23]
	v_mul_f64 v[128:129], v[112:113], s[10:11]
	v_add_f64 v[50:51], v[147:148], v[50:51]
	v_fma_f64 v[147:148], v[56:57], s[26:27], -v[74:75]
	v_fma_f64 v[56:57], v[56:57], s[26:27], v[74:75]
	v_fma_f64 v[74:75], v[72:73], s[36:37], v[106:107]
	;; [unrolled: 1-line block ×3, first 2 shown]
	v_add_f64 v[26:27], v[26:27], v[149:150]
	v_mul_f64 v[149:150], v[96:97], s[6:7]
	v_add_f64 v[92:93], v[92:93], v[145:146]
	v_add_f64 v[28:29], v[28:29], v[116:117]
	v_mul_f64 v[96:97], v[96:97], s[22:23]
	v_add_f64 v[14:15], v[84:85], v[14:15]
	v_add_f64 v[12:13], v[82:83], v[12:13]
	v_mul_f64 v[82:83], v[80:81], s[38:39]
	v_mul_f64 v[80:81], v[80:81], s[34:35]
	;; [unrolled: 1-line block ×3, first 2 shown]
	v_add_f64 v[90:91], v[130:131], -v[90:91]
	v_add_f64 v[122:123], v[155:156], v[122:123]
	v_add_f64 v[100:101], v[100:101], v[126:127]
	;; [unrolled: 1-line block ×6, first 2 shown]
	v_mul_f64 v[66:67], v[118:119], s[26:27]
	v_add_f64 v[114:115], v[147:148], v[114:115]
	v_fma_f64 v[147:148], v[60:61], s[28:29], -v[78:79]
	v_fma_f64 v[60:61], v[60:61], s[28:29], v[78:79]
	v_add_f64 v[56:57], v[56:57], v[151:152]
	v_add_f64 v[26:27], v[74:75], v[26:27]
	v_fma_f64 v[78:79], v[58:59], s[34:35], v[149:150]
	v_fma_f64 v[149:150], v[58:59], s[4:5], v[149:150]
	v_add_f64 v[28:29], v[72:73], v[28:29]
	v_fma_f64 v[126:127], v[58:59], s[38:39], v[96:97]
	v_add_f64 v[14:15], v[92:93], v[14:15]
	v_add_f64 v[12:13], v[86:87], v[12:13]
	v_mul_f64 v[72:73], v[98:99], s[8:9]
	v_mul_f64 v[98:99], v[98:99], s[42:43]
	v_fma_f64 v[86:87], v[62:63], s[22:23], -v[82:83]
	v_fma_f64 v[58:59], v[58:59], s[20:21], v[96:97]
	v_mul_f64 v[133:134], v[110:111], s[24:25]
	v_mul_f64 v[155:156], v[76:77], s[28:29]
	;; [unrolled: 1-line block ×3, first 2 shown]
	v_fma_f64 v[96:97], v[64:65], s[42:43], v[112:113]
	v_add_f64 v[108:109], v[108:109], v[143:144]
	v_add_f64 v[24:25], v[24:25], -v[102:103]
	v_mul_f64 v[106:107], v[110:111], s[40:41]
	v_mul_f64 v[130:131], v[110:111], s[20:21]
	v_add_f64 v[114:115], v[147:148], v[114:115]
	v_fma_f64 v[147:148], v[62:63], s[6:7], -v[80:81]
	v_fma_f64 v[80:81], v[62:63], s[6:7], v[80:81]
	v_fma_f64 v[62:63], v[62:63], s[22:23], v[82:83]
	v_add_f64 v[56:57], v[60:61], v[56:57]
	v_mul_f64 v[74:75], v[118:119], s[6:7]
	v_mul_f64 v[82:83], v[110:111], s[34:35]
	v_add_f64 v[28:29], v[126:127], v[28:29]
	v_add_f64 v[14:15], v[100:101], v[14:15]
	;; [unrolled: 1-line block ×3, first 2 shown]
	v_mul_f64 v[92:93], v[118:119], s[22:23]
	v_fma_f64 v[110:111], v[68:69], s[18:19], -v[98:99]
	v_fma_f64 v[159:160], v[64:65], s[8:9], v[128:129]
	v_add_f64 v[78:79], v[78:79], v[122:123]
	v_fma_f64 v[60:61], v[68:69], s[10:11], -v[72:73]
	v_mul_f64 v[88:89], v[118:119], s[10:11]
	v_add_f64 v[40:41], v[149:150], v[40:41]
	v_fma_f64 v[72:73], v[68:69], s[10:11], v[72:73]
	v_add_f64 v[26:27], v[58:59], v[26:27]
	v_fma_f64 v[58:59], v[68:69], s[18:19], v[98:99]
	v_add_f64 v[98:99], v[10:11], v[18:19]
	v_add_f64 v[16:17], v[8:9], v[16:17]
	;; [unrolled: 1-line block ×4, first 2 shown]
	v_fma_f64 v[50:51], v[64:65], s[40:41], v[128:129]
	v_add_f64 v[42:43], v[80:81], v[42:43]
	v_fma_f64 v[64:65], v[64:65], s[16:17], v[112:113]
	v_add_f64 v[56:57], v[62:63], v[56:57]
	v_fma_f64 v[116:117], v[70:71], s[44:45], v[66:67]
	v_fma_f64 v[145:146], v[76:77], s[26:27], v[133:134]
	v_add_f64 v[28:29], v[96:97], v[28:29]
	v_add_f64 v[90:91], v[104:105], v[124:125]
	;; [unrolled: 1-line block ×3, first 2 shown]
	v_add_f64 v[94:95], v[155:156], -v[94:95]
	v_add_f64 v[24:25], v[24:25], v[12:13]
	v_fma_f64 v[66:67], v[70:71], s[24:25], v[66:67]
	v_fma_f64 v[80:81], v[70:71], s[34:35], v[74:75]
	v_fma_f64 v[86:87], v[76:77], s[6:7], -v[82:83]
	v_fma_f64 v[62:63], v[70:71], s[20:21], v[92:93]
	v_add_f64 v[68:69], v[159:160], v[78:79]
	v_fma_f64 v[78:79], v[76:77], s[22:23], -v[130:131]
	v_fma_f64 v[84:85], v[70:71], s[8:9], v[88:89]
	v_fma_f64 v[151:152], v[76:77], s[10:11], v[106:107]
	;; [unrolled: 1-line block ×3, first 2 shown]
	v_add_f64 v[20:21], v[110:111], v[20:21]
	v_add_f64 v[60:61], v[60:61], v[22:23]
	v_fma_f64 v[106:107], v[76:77], s[10:11], -v[106:107]
	v_fma_f64 v[133:134], v[76:77], s[26:27], -v[133:134]
	;; [unrolled: 1-line block ×3, first 2 shown]
	v_fma_f64 v[92:93], v[70:71], s[38:39], v[92:93]
	v_add_f64 v[50:51], v[50:51], v[40:41]
	v_fma_f64 v[100:101], v[76:77], s[22:23], v[130:131]
	v_add_f64 v[72:73], v[72:73], v[42:43]
	v_fma_f64 v[70:71], v[70:71], s[4:5], v[74:75]
	v_add_f64 v[64:65], v[64:65], v[26:27]
	v_fma_f64 v[74:75], v[76:77], s[6:7], v[82:83]
	v_add_f64 v[56:57], v[58:59], v[56:57]
	v_add_f64 v[6:7], v[6:7], v[98:99]
	v_add_f64 v[4:5], v[4:5], v[16:17]
	;; [unrolled: 1-line block ×22, first 2 shown]
	v_and_b32_e32 v52, 0xffff, v142
	v_add_lshl_u32 v52, v139, v52, 4
	ds_write_b128 v52, v[4:7]
	ds_write_b128 v52, v[36:39] offset:16
	ds_write_b128 v52, v[28:31] offset:32
	;; [unrolled: 1-line block ×12, first 2 shown]
.LBB0_7:
	s_or_b32 exec_lo, exec_lo, s33
	v_add_co_u32 v40, null, v138, 26
	v_add_nc_u16 v4, v138, 52
	s_load_dwordx4 s[4:7], s[0:1], 0x0
	v_cmp_gt_u16_e64 s0, 13, v138
	v_and_b32_e32 v5, 0xff, v40
	s_waitcnt lgkmcnt(0)
	v_and_b32_e32 v6, 0xff, v4
	s_barrier
	buffer_gl0_inv
	v_mul_lo_u16 v5, 0x4f, v5
	v_add_lshl_u32 v133, v139, v138, 4
	v_mul_lo_u16 v6, 0x4f, v6
	s_mov_b32 s9, 0xbfebb67a
	v_lshlrev_b32_e32 v134, 4, v138
	v_lshrrev_b16 v125, 10, v5
	v_add_nc_u32_e32 v5, -13, v138
	v_lshrrev_b16 v126, 10, v6
	v_mul_lo_u16 v6, v125, 13
	v_cndmask_b32_e64 v127, v5, v138, s0
	v_mul_lo_u16 v5, v126, 13
	v_sub_nc_u16 v6, v40, v6
	v_mul_i32_i24_e32 v7, 48, v127
	v_mul_hi_i32_i24_e32 v8, 48, v127
	v_sub_nc_u16 v9, v4, v5
	v_and_b32_e32 v128, 0xff, v6
	v_add_co_u32 v4, s0, s2, v7
	v_add_co_ci_u32_e64 v5, s0, s3, v8, s0
	v_and_b32_e32 v129, 0xff, v9
	v_mad_u64_u32 v[6:7], null, v128, 48, s[2:3]
	s_clause 0x1
	global_load_dwordx4 v[24:27], v[4:5], off
	global_load_dwordx4 v[20:23], v[4:5], off offset:16
	v_cmp_lt_u16_e64 s0, 12, v138
	v_mad_u64_u32 v[28:29], null, v129, 48, s[2:3]
	s_clause 0x6
	global_load_dwordx4 v[16:19], v[4:5], off offset:32
	global_load_dwordx4 v[12:15], v[6:7], off
	global_load_dwordx4 v[8:11], v[6:7], off offset:16
	global_load_dwordx4 v[4:7], v[6:7], off offset:32
	global_load_dwordx4 v[36:39], v[28:29], off
	global_load_dwordx4 v[32:35], v[28:29], off offset:16
	global_load_dwordx4 v[28:31], v[28:29], off offset:32
	ds_read_b128 v[41:44], v133 offset:1248
	ds_read_b128 v[45:48], v133 offset:2496
	ds_read_b128 v[49:52], v133 offset:3744
	ds_read_b128 v[53:56], v133 offset:1664
	ds_read_b128 v[57:60], v133 offset:2912
	ds_read_b128 v[61:64], v133 offset:4160
	ds_read_b128 v[65:68], v133 offset:2080
	ds_read_b128 v[69:72], v133 offset:3328
	ds_read_b128 v[73:76], v133 offset:4576
	ds_read_b128 v[77:80], v133 offset:832
	ds_read_b128 v[81:84], v133
	ds_read_b128 v[85:88], v133 offset:416
	s_waitcnt vmcnt(0) lgkmcnt(0)
	s_barrier
	buffer_gl0_inv
	v_mul_f64 v[89:90], v[43:44], v[26:27]
	v_mul_f64 v[91:92], v[41:42], v[26:27]
	;; [unrolled: 1-line block ×18, first 2 shown]
	v_fma_f64 v[41:42], v[41:42], v[24:25], -v[89:90]
	v_fma_f64 v[43:44], v[43:44], v[24:25], v[91:92]
	v_fma_f64 v[45:46], v[45:46], v[20:21], -v[93:94]
	v_fma_f64 v[47:48], v[47:48], v[20:21], v[95:96]
	;; [unrolled: 2-line block ×9, first 2 shown]
	v_cndmask_b32_e64 v101, 0, 52, s0
	v_lshlrev_b32_e32 v120, 5, v138
	s_mov_b32 s0, 0xe8584caa
	s_mov_b32 s1, 0x3febb67a
	;; [unrolled: 1-line block ×3, first 2 shown]
	v_add_f64 v[89:90], v[81:82], -v[45:46]
	v_add_f64 v[91:92], v[83:84], -v[47:48]
	;; [unrolled: 1-line block ×12, first 2 shown]
	v_fma_f64 v[71:72], v[81:82], 2.0, -v[89:90]
	v_fma_f64 v[73:74], v[83:84], 2.0, -v[91:92]
	;; [unrolled: 1-line block ×4, first 2 shown]
	v_add_f64 v[41:42], v[89:90], -v[47:48]
	v_add_f64 v[43:44], v[91:92], v[45:46]
	v_fma_f64 v[81:82], v[85:86], 2.0, -v[93:94]
	v_fma_f64 v[83:84], v[87:88], 2.0, -v[95:96]
	;; [unrolled: 1-line block ×4, first 2 shown]
	v_add_f64 v[49:50], v[93:94], -v[49:50]
	v_add_f64 v[51:52], v[95:96], v[51:52]
	v_fma_f64 v[85:86], v[77:78], 2.0, -v[97:98]
	v_fma_f64 v[79:80], v[79:80], 2.0, -v[99:100]
	;; [unrolled: 1-line block ×4, first 2 shown]
	v_add_f64 v[53:54], v[97:98], -v[57:58]
	v_add_f64 v[45:46], v[71:72], -v[59:60]
	;; [unrolled: 1-line block ×5, first 2 shown]
	v_add_f64 v[55:56], v[99:100], v[69:70]
	v_fma_f64 v[75:76], v[95:96], 2.0, -v[51:52]
	v_add_f64 v[61:62], v[85:86], -v[65:66]
	v_add_f64 v[63:64], v[79:80], -v[67:68]
	v_mov_b32_e32 v65, 52
	v_fma_f64 v[67:68], v[91:92], 2.0, -v[43:44]
	v_fma_f64 v[77:78], v[97:98], 2.0, -v[53:54]
	v_lshlrev_b32_e32 v92, 5, v40
	v_mul_u32_u24_sdwa v102, v125, v65 dst_sel:DWORD dst_unused:UNUSED_PAD src0_sel:WORD_0 src1_sel:DWORD
	v_mul_u32_u24_sdwa v103, v126, v65 dst_sel:DWORD dst_unused:UNUSED_PAD src0_sel:WORD_0 src1_sel:DWORD
	v_fma_f64 v[65:66], v[89:90], 2.0, -v[41:42]
	v_fma_f64 v[69:70], v[71:72], 2.0, -v[45:46]
	;; [unrolled: 1-line block ×4, first 2 shown]
	v_add_nc_u32_e32 v89, v127, v101
	v_add_nc_u32_e32 v90, v102, v128
	;; [unrolled: 1-line block ×3, first 2 shown]
	v_fma_f64 v[81:82], v[81:82], 2.0, -v[57:58]
	v_fma_f64 v[83:84], v[83:84], 2.0, -v[59:60]
	v_add_lshl_u32 v146, v139, v89, 4
	v_add_lshl_u32 v145, v139, v90, 4
	;; [unrolled: 1-line block ×3, first 2 shown]
	v_fma_f64 v[85:86], v[85:86], 2.0, -v[61:62]
	v_fma_f64 v[87:88], v[79:80], 2.0, -v[63:64]
	;; [unrolled: 1-line block ×3, first 2 shown]
	ds_write_b128 v146, v[41:44] offset:624
	ds_write_b128 v146, v[65:68] offset:208
	;; [unrolled: 1-line block ×3, first 2 shown]
	ds_write_b128 v146, v[69:72]
	ds_write_b128 v145, v[49:52] offset:624
	ds_write_b128 v145, v[73:76] offset:208
	;; [unrolled: 1-line block ×3, first 2 shown]
	ds_write_b128 v145, v[81:84]
	ds_write_b128 v144, v[85:88]
	ds_write_b128 v144, v[77:80] offset:208
	ds_write_b128 v144, v[61:64] offset:416
	;; [unrolled: 1-line block ×3, first 2 shown]
	s_waitcnt lgkmcnt(0)
	s_barrier
	buffer_gl0_inv
	s_clause 0x3
	global_load_dwordx4 v[44:47], v120, s[2:3] offset:624
	global_load_dwordx4 v[40:43], v120, s[2:3] offset:640
	;; [unrolled: 1-line block ×4, first 2 shown]
	ds_read_b128 v[56:59], v133 offset:1664
	ds_read_b128 v[60:63], v133 offset:3328
	;; [unrolled: 1-line block ×8, first 2 shown]
	v_add_co_u32 v143, s2, s2, v120
	v_add_co_ci_u32_e64 v159, null, s3, 0, s2
	s_waitcnt vmcnt(3) lgkmcnt(7)
	v_mul_f64 v[88:89], v[58:59], v[46:47]
	v_mul_f64 v[90:91], v[56:57], v[46:47]
	s_waitcnt vmcnt(2) lgkmcnt(6)
	v_mul_f64 v[92:93], v[62:63], v[42:43]
	v_mul_f64 v[94:95], v[60:61], v[42:43]
	;; [unrolled: 3-line block ×4, first 2 shown]
	s_waitcnt lgkmcnt(3)
	v_mul_f64 v[104:105], v[74:75], v[46:47]
	v_mul_f64 v[106:107], v[72:73], v[46:47]
	s_waitcnt lgkmcnt(2)
	v_mul_f64 v[108:109], v[78:79], v[42:43]
	v_mul_f64 v[110:111], v[76:77], v[42:43]
	;; [unrolled: 3-line block ×4, first 2 shown]
	v_fma_f64 v[88:89], v[56:57], v[44:45], -v[88:89]
	v_fma_f64 v[90:91], v[58:59], v[44:45], v[90:91]
	v_fma_f64 v[92:93], v[60:61], v[40:41], -v[92:93]
	v_fma_f64 v[94:95], v[62:63], v[40:41], v[94:95]
	;; [unrolled: 2-line block ×8, first 2 shown]
	ds_read_b128 v[56:59], v133
	ds_read_b128 v[60:63], v133 offset:416
	ds_read_b128 v[64:67], v133 offset:832
	;; [unrolled: 1-line block ×3, first 2 shown]
	s_waitcnt lgkmcnt(0)
	s_barrier
	buffer_gl0_inv
	v_add_f64 v[104:105], v[88:89], v[92:93]
	v_add_f64 v[106:107], v[90:91], v[94:95]
	v_add_f64 v[118:119], v[90:91], -v[94:95]
	v_add_f64 v[108:109], v[96:97], v[100:101]
	v_add_f64 v[110:111], v[98:99], v[102:103]
	;; [unrolled: 1-line block ×4, first 2 shown]
	v_add_f64 v[151:152], v[74:75], -v[78:79]
	v_add_f64 v[153:154], v[72:73], -v[76:77]
	v_add_f64 v[114:115], v[56:57], v[88:89]
	v_add_f64 v[120:121], v[80:81], v[84:85]
	;; [unrolled: 1-line block ×10, first 2 shown]
	v_add_f64 v[88:89], v[88:89], -v[92:93]
	v_fma_f64 v[104:105], v[104:105], -0.5, v[56:57]
	v_fma_f64 v[106:107], v[106:107], -0.5, v[58:59]
	v_add_f64 v[98:99], v[98:99], -v[102:103]
	v_add_f64 v[96:97], v[96:97], -v[100:101]
	v_fma_f64 v[108:109], v[108:109], -0.5, v[60:61]
	v_fma_f64 v[110:111], v[110:111], -0.5, v[62:63]
	v_add_f64 v[155:156], v[82:83], -v[86:87]
	v_fma_f64 v[112:113], v[112:113], -0.5, v[64:65]
	v_fma_f64 v[116:117], v[116:117], -0.5, v[66:67]
	v_add_f64 v[157:158], v[80:81], -v[84:85]
	v_add_f64 v[56:57], v[114:115], v[92:93]
	v_fma_f64 v[120:121], v[120:121], -0.5, v[68:69]
	v_fma_f64 v[114:115], v[122:123], -0.5, v[70:71]
	v_add_f64 v[58:59], v[90:91], v[94:95]
	v_add_f64 v[60:61], v[124:125], v[100:101]
	;; [unrolled: 1-line block ×7, first 2 shown]
	v_fma_f64 v[72:73], v[118:119], s[0:1], v[104:105]
	v_fma_f64 v[74:75], v[88:89], s[8:9], v[106:107]
	;; [unrolled: 1-line block ×16, first 2 shown]
	v_sub_co_u32 v106, s0, v143, v134
	v_subrev_co_ci_u32_e64 v107, s0, 0, v159, s0
	ds_write_b128 v133, v[56:59]
	ds_write_b128 v133, v[60:63] offset:416
	ds_write_b128 v133, v[64:67] offset:2496
	;; [unrolled: 1-line block ×11, first 2 shown]
	v_add_co_u32 v104, s0, 0x800, v106
	v_add_co_ci_u32_e64 v105, s0, 0, v107, s0
	v_add_co_u32 v72, s0, 0x1000, v106
	v_add_co_ci_u32_e64 v73, s0, 0, v107, s0
	s_waitcnt lgkmcnt(0)
	s_barrier
	buffer_gl0_inv
	s_clause 0x5
	global_load_dwordx4 v[56:59], v[104:105], off offset:240
	global_load_dwordx4 v[60:63], v[104:105], off offset:656
	;; [unrolled: 1-line block ×6, first 2 shown]
	ds_read_b128 v[80:83], v133 offset:2496
	ds_read_b128 v[84:87], v133 offset:2912
	;; [unrolled: 1-line block ×6, first 2 shown]
	ds_read_b128 v[104:107], v133
	ds_read_b128 v[112:115], v133 offset:416
	ds_read_b128 v[120:123], v133 offset:832
	;; [unrolled: 1-line block ×3, first 2 shown]
	v_lshl_add_u32 v143, v138, 4, v141
	s_waitcnt vmcnt(5) lgkmcnt(9)
	v_mul_f64 v[108:109], v[82:83], v[58:59]
	v_mul_f64 v[110:111], v[80:81], v[58:59]
	s_waitcnt vmcnt(4) lgkmcnt(8)
	v_mul_f64 v[116:117], v[86:87], v[62:63]
	v_mul_f64 v[118:119], v[84:85], v[62:63]
	;; [unrolled: 3-line block ×6, first 2 shown]
	v_fma_f64 v[80:81], v[80:81], v[56:57], -v[108:109]
	v_fma_f64 v[82:83], v[82:83], v[56:57], v[110:111]
	v_fma_f64 v[108:109], v[84:85], v[60:61], -v[116:117]
	v_fma_f64 v[110:111], v[86:87], v[60:61], v[118:119]
	;; [unrolled: 2-line block ×6, first 2 shown]
	ds_read_b128 v[128:131], v133 offset:1664
	ds_read_b128 v[147:150], v133 offset:2080
	s_waitcnt lgkmcnt(5)
	v_add_f64 v[84:85], v[104:105], -v[80:81]
	v_add_f64 v[86:87], v[106:107], -v[82:83]
	s_waitcnt lgkmcnt(4)
	v_add_f64 v[88:89], v[112:113], -v[108:109]
	v_add_f64 v[90:91], v[114:115], -v[110:111]
	;; [unrolled: 3-line block ×6, first 2 shown]
	v_fma_f64 v[80:81], v[104:105], 2.0, -v[84:85]
	v_fma_f64 v[82:83], v[106:107], 2.0, -v[86:87]
	;; [unrolled: 1-line block ×12, first 2 shown]
	v_add_nc_u32_e32 v147, v134, v141
	ds_write_b128 v143, v[84:87] offset:2496
	ds_write_b128 v143, v[88:91] offset:2912
	;; [unrolled: 1-line block ×4, first 2 shown]
	ds_write_b128 v143, v[80:83]
	ds_write_b128 v143, v[92:95] offset:416
	ds_write_b128 v143, v[104:107] offset:832
	;; [unrolled: 1-line block ×7, first 2 shown]
	s_waitcnt lgkmcnt(0)
	s_barrier
	buffer_gl0_inv
	s_and_saveexec_b32 s2, vcc_lo
	s_cbranch_execz .LBB0_9
; %bb.8:
	s_add_u32 s0, s14, 0x1380
	s_addc_u32 s1, s15, 0
	v_or_b32_e32 v168, 0xc00, v140
	s_clause 0x5
	global_load_dwordx4 v[128:131], v140, s[0:1]
	global_load_dwordx4 v[148:151], v140, s[0:1] offset:384
	global_load_dwordx4 v[152:155], v140, s[0:1] offset:768
	;; [unrolled: 1-line block ×5, first 2 shown]
	v_or_b32_e32 v180, 0x1200, v140
	global_load_dwordx4 v[168:171], v168, s[0:1]
	ds_read_b128 v[172:175], v143
	ds_read_b128 v[176:179], v143 offset:384
	ds_read_b128 v[184:187], v143 offset:768
	;; [unrolled: 1-line block ×3, first 2 shown]
	global_load_dwordx4 v[180:183], v180, s[0:1]
	v_add_co_u32 v196, s0, s0, v140
	v_add_co_ci_u32_e64 v197, null, s1, 0, s0
	s_waitcnt vmcnt(7) lgkmcnt(3)
	v_mul_f64 v[192:193], v[174:175], v[130:131]
	v_mul_f64 v[130:131], v[172:173], v[130:131]
	s_waitcnt vmcnt(6) lgkmcnt(2)
	v_mul_f64 v[194:195], v[178:179], v[150:151]
	v_mul_f64 v[150:151], v[176:177], v[150:151]
	v_fma_f64 v[172:173], v[172:173], v[128:129], -v[192:193]
	s_waitcnt vmcnt(5) lgkmcnt(1)
	v_mul_f64 v[192:193], v[186:187], v[154:155]
	v_fma_f64 v[174:175], v[174:175], v[128:129], v[130:131]
	ds_read_b128 v[128:131], v143 offset:1536
	v_fma_f64 v[176:177], v[176:177], v[148:149], -v[194:195]
	s_waitcnt vmcnt(4) lgkmcnt(1)
	v_mul_f64 v[194:195], v[190:191], v[158:159]
	v_mul_f64 v[154:155], v[184:185], v[154:155]
	v_fma_f64 v[178:179], v[178:179], v[148:149], v[150:151]
	ds_read_b128 v[148:151], v143 offset:1920
	v_mul_f64 v[158:159], v[188:189], v[158:159]
	v_fma_f64 v[184:185], v[184:185], v[152:153], -v[192:193]
	s_waitcnt vmcnt(3) lgkmcnt(1)
	v_mul_f64 v[192:193], v[130:131], v[162:163]
	v_mul_f64 v[162:163], v[128:129], v[162:163]
	v_fma_f64 v[188:189], v[188:189], v[156:157], -v[194:195]
	s_waitcnt vmcnt(2) lgkmcnt(0)
	v_mul_f64 v[194:195], v[150:151], v[166:167]
	v_mul_f64 v[166:167], v[148:149], v[166:167]
	v_fma_f64 v[186:187], v[186:187], v[152:153], v[154:155]
	ds_read_b128 v[152:155], v143 offset:3072
	v_fma_f64 v[190:191], v[190:191], v[156:157], v[158:159]
	ds_read_b128 v[156:159], v143 offset:3456
	v_fma_f64 v[128:129], v[128:129], v[160:161], -v[192:193]
	v_fma_f64 v[130:131], v[130:131], v[160:161], v[162:163]
	v_add_co_u32 v160, s0, 0x1000, v196
	v_add_co_ci_u32_e64 v161, s0, 0, v197, s0
	v_add_co_u32 v200, s0, 0x800, v196
	v_add_co_ci_u32_e64 v201, s0, 0, v197, s0
	global_load_dwordx4 v[160:163], v[160:161], off offset:128
	s_waitcnt vmcnt(2) lgkmcnt(1)
	v_mul_f64 v[192:193], v[154:155], v[170:171]
	v_fma_f64 v[148:149], v[148:149], v[164:165], -v[194:195]
	v_fma_f64 v[150:151], v[150:151], v[164:165], v[166:167]
	global_load_dwordx4 v[164:167], v[200:201], off offset:256
	v_mul_f64 v[170:171], v[152:153], v[170:171]
	v_fma_f64 v[152:153], v[152:153], v[168:169], -v[192:193]
	v_fma_f64 v[154:155], v[154:155], v[168:169], v[170:171]
	global_load_dwordx4 v[168:171], v[200:201], off offset:640
	ds_read_b128 v[192:195], v143 offset:2304
	ds_read_b128 v[196:199], v143 offset:2688
	s_waitcnt vmcnt(1) lgkmcnt(1)
	v_mul_f64 v[202:203], v[194:195], v[166:167]
	v_mul_f64 v[166:167], v[192:193], v[166:167]
	v_fma_f64 v[192:193], v[192:193], v[164:165], -v[202:203]
	v_fma_f64 v[194:195], v[194:195], v[164:165], v[166:167]
	s_waitcnt vmcnt(0) lgkmcnt(0)
	v_mul_f64 v[164:165], v[198:199], v[170:171]
	v_mul_f64 v[166:167], v[196:197], v[170:171]
	v_fma_f64 v[164:165], v[196:197], v[168:169], -v[164:165]
	v_fma_f64 v[166:167], v[198:199], v[168:169], v[166:167]
	s_clause 0x1
	global_load_dwordx4 v[168:171], v[200:201], off offset:1408
	global_load_dwordx4 v[196:199], v[200:201], off offset:1792
	s_waitcnt vmcnt(1)
	v_mul_f64 v[200:201], v[158:159], v[170:171]
	v_mul_f64 v[170:171], v[156:157], v[170:171]
	v_fma_f64 v[156:157], v[156:157], v[168:169], -v[200:201]
	v_fma_f64 v[158:159], v[158:159], v[168:169], v[170:171]
	ds_read_b128 v[168:171], v143 offset:3840
	ds_read_b128 v[200:203], v143 offset:4224
	s_waitcnt vmcnt(0) lgkmcnt(1)
	v_mul_f64 v[204:205], v[170:171], v[198:199]
	v_mul_f64 v[198:199], v[168:169], v[198:199]
	v_fma_f64 v[168:169], v[168:169], v[196:197], -v[204:205]
	v_fma_f64 v[170:171], v[170:171], v[196:197], v[198:199]
	s_waitcnt lgkmcnt(0)
	v_mul_f64 v[196:197], v[202:203], v[162:163]
	v_mul_f64 v[162:163], v[200:201], v[162:163]
	v_fma_f64 v[196:197], v[200:201], v[160:161], -v[196:197]
	v_fma_f64 v[198:199], v[202:203], v[160:161], v[162:163]
	ds_read_b128 v[160:163], v143 offset:4608
	s_waitcnt lgkmcnt(0)
	v_mul_f64 v[200:201], v[162:163], v[182:183]
	v_mul_f64 v[182:183], v[160:161], v[182:183]
	v_fma_f64 v[160:161], v[160:161], v[180:181], -v[200:201]
	v_fma_f64 v[162:163], v[162:163], v[180:181], v[182:183]
	ds_write_b128 v143, v[172:175]
	ds_write_b128 v143, v[176:179] offset:384
	ds_write_b128 v143, v[184:187] offset:768
	;; [unrolled: 1-line block ×12, first 2 shown]
.LBB0_9:
	s_or_b32 exec_lo, exec_lo, s2
	s_waitcnt lgkmcnt(0)
	s_barrier
	buffer_gl0_inv
	s_and_saveexec_b32 s0, vcc_lo
	s_cbranch_execz .LBB0_11
; %bb.10:
	ds_read_b128 v[80:83], v143
	ds_read_b128 v[84:87], v143 offset:384
	ds_read_b128 v[92:95], v143 offset:768
	;; [unrolled: 1-line block ×12, first 2 shown]
.LBB0_11:
	s_or_b32 exec_lo, exec_lo, s0
	v_add_nc_u32_e32 v131, 0x680, v147
	v_add_nc_u32_e32 v130, 0x820, v147
	s_waitcnt lgkmcnt(0)
	s_barrier
	buffer_gl0_inv
	s_and_saveexec_b32 s33, vcc_lo
	s_cbranch_execz .LBB0_13
; %bb.12:
	v_add_f64 v[128:129], v[82:83], v[86:87]
	v_add_f64 v[147:148], v[80:81], v[84:85]
	v_add_f64 v[151:152], v[124:125], -v[116:117]
	v_add_f64 v[153:154], v[98:99], -v[122:123]
	v_add_f64 v[155:156], v[120:121], v[96:97]
	v_add_f64 v[157:158], v[106:107], v[110:111]
	;; [unrolled: 1-line block ×6, first 2 shown]
	s_mov_b32 s37, 0x3fddbe06
	s_mov_b32 s36, 0x4267c47c
	;; [unrolled: 1-line block ×7, first 2 shown]
	v_add_f64 v[165:166], v[102:103], v[94:95]
	s_mov_b32 s35, 0x3fefc445
	s_mov_b32 s31, 0xbfedeba7
	;; [unrolled: 1-line block ×4, first 2 shown]
	v_add_f64 v[128:129], v[94:95], v[128:129]
	v_add_f64 v[147:148], v[92:93], v[147:148]
	s_mov_b32 s25, 0xbfe5384d
	s_mov_b32 s27, 0xbfea55e2
	;; [unrolled: 1-line block ×5, first 2 shown]
	v_mul_f64 v[169:170], v[151:152], s[36:37]
	s_mov_b32 s10, 0xebaa3ed8
	s_mov_b32 s8, 0xb2365da1
	;; [unrolled: 1-line block ×12, first 2 shown]
	v_mul_f64 v[219:220], v[151:152], s[34:35]
	s_mov_b32 s39, 0x3fe5384d
	v_add_f64 v[128:129], v[90:91], v[128:129]
	v_add_f64 v[147:148], v[88:89], v[147:148]
	s_mov_b32 s38, s24
	v_mul_f64 v[243:244], v[151:152], s[24:25]
	v_add_f64 v[128:129], v[106:107], v[128:129]
	v_add_f64 v[147:148], v[104:105], v[147:148]
	;; [unrolled: 1-line block ×8, first 2 shown]
	v_add_f64 v[126:127], v[126:127], -v[118:119]
	v_add_f64 v[118:119], v[118:119], v[149:150]
	v_add_f64 v[116:117], v[116:117], v[147:148]
	v_add_f64 v[147:148], v[96:97], -v[120:121]
	v_add_f64 v[149:150], v[122:123], v[98:99]
	v_mul_f64 v[171:172], v[126:127], s[36:37]
	v_mul_f64 v[221:222], v[126:127], s[34:35]
	;; [unrolled: 1-line block ×3, first 2 shown]
	v_add_f64 v[96:97], v[122:123], v[118:119]
	v_add_f64 v[98:99], v[120:121], v[116:117]
	v_add_f64 v[116:117], v[104:105], -v[108:109]
	v_add_f64 v[118:119], v[106:107], -v[110:111]
	;; [unrolled: 1-line block ×4, first 2 shown]
	v_add_f64 v[96:97], v[110:111], v[96:97]
	v_add_f64 v[98:99], v[108:109], v[98:99]
	v_add_f64 v[108:109], v[92:93], -v[100:101]
	v_add_f64 v[110:111], v[94:95], -v[102:103]
	;; [unrolled: 1-line block ×4, first 2 shown]
	v_add_f64 v[86:87], v[2:3], v[86:87]
	v_add_f64 v[84:85], v[0:1], v[84:85]
	v_mul_f64 v[120:121], v[116:117], s[36:37]
	v_mul_f64 v[122:123], v[118:119], s[36:37]
	v_add_f64 v[88:89], v[114:115], v[96:97]
	v_add_f64 v[90:91], v[112:113], v[98:99]
	v_mul_f64 v[96:97], v[147:148], s[36:37]
	v_mul_f64 v[98:99], v[153:154], s[36:37]
	;; [unrolled: 1-line block ×11, first 2 shown]
	v_add_f64 v[88:89], v[102:103], v[88:89]
	v_add_f64 v[90:91], v[100:101], v[90:91]
	v_mul_f64 v[100:101], v[92:93], s[28:29]
	v_mul_f64 v[102:103], v[92:93], s[24:25]
	v_fma_f64 v[183:184], v[86:87], s[8:9], v[173:174]
	v_fma_f64 v[173:174], v[86:87], s[8:9], -v[173:174]
	v_fma_f64 v[185:186], v[86:87], s[10:11], v[175:176]
	v_fma_f64 v[175:176], v[86:87], s[10:11], -v[175:176]
	v_fma_f64 v[187:188], v[86:87], s[16:17], -v[177:178]
	v_fma_f64 v[177:178], v[86:87], s[16:17], v[177:178]
	v_fma_f64 v[201:202], v[84:85], s[2:3], -v[191:192]
	v_fma_f64 v[191:192], v[84:85], s[2:3], v[191:192]
	;; [unrolled: 2-line block ×4, first 2 shown]
	v_fma_f64 v[207:208], v[84:85], s[16:17], v[197:198]
	v_fma_f64 v[197:198], v[84:85], s[16:17], -v[197:198]
	v_add_f64 v[2:3], v[2:3], v[88:89]
	v_add_f64 v[0:1], v[0:1], v[90:91]
	v_mul_f64 v[88:89], v[108:109], s[36:37]
	v_mul_f64 v[90:91], v[110:111], s[36:37]
	s_mov_b32 s37, 0xbfddbe06
	v_fma_f64 v[179:180], v[86:87], s[0:1], v[100:101]
	v_mul_f64 v[92:93], v[92:93], s[36:37]
	v_fma_f64 v[100:101], v[86:87], s[0:1], -v[100:101]
	v_fma_f64 v[181:182], v[86:87], s[2:3], v[102:103]
	v_fma_f64 v[102:103], v[86:87], s[2:3], -v[102:103]
	v_add_f64 v[183:184], v[82:83], v[183:184]
	v_add_f64 v[173:174], v[82:83], v[173:174]
	;; [unrolled: 1-line block ×10, first 2 shown]
	v_fma_f64 v[189:190], v[86:87], s[18:19], -v[92:93]
	v_fma_f64 v[86:87], v[86:87], s[18:19], v[92:93]
	v_mul_f64 v[92:93], v[94:95], s[28:29]
	v_mul_f64 v[94:95], v[94:95], s[36:37]
	v_add_f64 v[100:101], v[82:83], v[100:101]
	v_add_f64 v[181:182], v[82:83], v[181:182]
	;; [unrolled: 1-line block ×3, first 2 shown]
	s_mov_b32 s37, 0x3fcea1e5
	s_mov_b32 s36, s28
	v_add_f64 v[189:190], v[82:83], v[189:190]
	v_fma_f64 v[199:200], v[84:85], s[0:1], -v[92:93]
	v_fma_f64 v[92:93], v[84:85], s[0:1], v[92:93]
	v_fma_f64 v[209:210], v[84:85], s[18:19], v[94:95]
	v_fma_f64 v[84:85], v[84:85], s[18:19], -v[94:95]
	v_add_f64 v[94:95], v[82:83], v[179:180]
	v_add_f64 v[179:180], v[80:81], v[199:200]
	;; [unrolled: 1-line block ×9, first 2 shown]
	v_fma_f64 v[80:81], v[165:166], s[18:19], v[88:89]
	v_mul_f64 v[84:85], v[104:105], s[24:25]
	v_add_f64 v[209:210], v[82:83], v[86:87]
	v_fma_f64 v[82:83], v[167:168], s[18:19], -v[90:91]
	v_fma_f64 v[88:89], v[165:166], s[18:19], -v[88:89]
	v_fma_f64 v[90:91], v[167:168], s[18:19], v[90:91]
	v_add_f64 v[80:81], v[80:81], v[94:95]
	v_fma_f64 v[86:87], v[161:162], s[2:3], v[84:85]
	v_fma_f64 v[84:85], v[161:162], s[2:3], -v[84:85]
	v_add_f64 v[82:83], v[82:83], v[179:180]
	v_add_f64 v[88:89], v[88:89], v[100:101]
	v_add_f64 v[90:91], v[90:91], v[92:93]
	v_mul_f64 v[92:93], v[108:109], s[34:35]
	v_mul_f64 v[100:101], v[104:105], s[26:27]
	v_add_f64 v[80:81], v[86:87], v[80:81]
	v_mul_f64 v[86:87], v[106:107], s[24:25]
	v_add_f64 v[84:85], v[84:85], v[88:89]
	v_fma_f64 v[94:95], v[163:164], s[2:3], -v[86:87]
	v_fma_f64 v[86:87], v[163:164], s[2:3], v[86:87]
	v_add_f64 v[82:83], v[94:95], v[82:83]
	v_mul_f64 v[94:95], v[116:117], s[20:21]
	v_add_f64 v[86:87], v[86:87], v[90:91]
	v_fma_f64 v[90:91], v[124:125], s[10:11], v[221:222]
	v_fma_f64 v[179:180], v[157:158], s[16:17], v[94:95]
	v_fma_f64 v[88:89], v[157:158], s[16:17], -v[94:95]
	v_mul_f64 v[94:95], v[110:111], s[34:35]
	v_add_f64 v[80:81], v[179:180], v[80:81]
	v_mul_f64 v[179:180], v[118:119], s[20:21]
	v_add_f64 v[84:85], v[88:89], v[84:85]
	v_fma_f64 v[213:214], v[159:160], s[16:17], -v[179:180]
	v_fma_f64 v[88:89], v[159:160], s[16:17], v[179:180]
	v_fma_f64 v[179:180], v[161:162], s[16:17], v[100:101]
	v_fma_f64 v[100:101], v[161:162], s[16:17], -v[100:101]
	v_add_f64 v[82:83], v[213:214], v[82:83]
	v_mul_f64 v[213:214], v[147:148], s[30:31]
	v_add_f64 v[86:87], v[88:89], v[86:87]
	v_fma_f64 v[215:216], v[149:150], s[8:9], v[213:214]
	v_fma_f64 v[88:89], v[149:150], s[8:9], -v[213:214]
	v_add_f64 v[80:81], v[215:216], v[80:81]
	v_mul_f64 v[215:216], v[153:154], s[30:31]
	v_add_f64 v[84:85], v[88:89], v[84:85]
	v_fma_f64 v[88:89], v[155:156], s[8:9], v[215:216]
	v_fma_f64 v[217:218], v[155:156], s[8:9], -v[215:216]
	v_mul_f64 v[215:216], v[151:152], s[30:31]
	v_add_f64 v[88:89], v[88:89], v[86:87]
	v_fma_f64 v[86:87], v[128:129], s[10:11], -v[219:220]
	v_add_f64 v[217:218], v[217:218], v[82:83]
	v_fma_f64 v[82:83], v[128:129], s[10:11], v[219:220]
	v_mul_f64 v[219:220], v[126:127], s[28:29]
	v_add_f64 v[86:87], v[86:87], v[84:85]
	v_add_f64 v[84:85], v[90:91], v[88:89]
	v_fma_f64 v[88:89], v[165:166], s[10:11], v[92:93]
	v_fma_f64 v[90:91], v[167:168], s[10:11], -v[94:95]
	v_fma_f64 v[92:93], v[165:166], s[10:11], -v[92:93]
	v_fma_f64 v[94:95], v[167:168], s[10:11], v[94:95]
	v_add_f64 v[82:83], v[82:83], v[80:81]
	v_fma_f64 v[80:81], v[124:125], s[10:11], -v[221:222]
	v_mul_f64 v[221:222], v[108:109], s[30:31]
	v_add_f64 v[88:89], v[88:89], v[181:182]
	v_add_f64 v[90:91], v[90:91], v[199:200]
	;; [unrolled: 1-line block ×4, first 2 shown]
	v_mul_f64 v[191:192], v[106:107], s[22:23]
	v_add_f64 v[80:81], v[80:81], v[217:218]
	v_mul_f64 v[217:218], v[126:127], s[30:31]
	v_mul_f64 v[126:127], v[126:127], s[20:21]
	v_add_f64 v[88:89], v[179:180], v[88:89]
	v_mul_f64 v[179:180], v[106:107], s[26:27]
	v_add_f64 v[92:93], v[100:101], v[92:93]
	v_fma_f64 v[181:182], v[163:164], s[16:17], -v[179:180]
	v_fma_f64 v[100:101], v[163:164], s[16:17], v[179:180]
	v_mul_f64 v[179:180], v[108:109], s[26:27]
	v_add_f64 v[90:91], v[181:182], v[90:91]
	v_mul_f64 v[181:182], v[116:117], s[36:37]
	v_add_f64 v[94:95], v[100:101], v[94:95]
	v_fma_f64 v[199:200], v[157:158], s[0:1], v[181:182]
	v_fma_f64 v[100:101], v[157:158], s[0:1], -v[181:182]
	v_mul_f64 v[181:182], v[110:111], s[26:27]
	v_add_f64 v[88:89], v[199:200], v[88:89]
	v_mul_f64 v[199:200], v[118:119], s[36:37]
	v_add_f64 v[92:93], v[100:101], v[92:93]
	v_fma_f64 v[213:214], v[159:160], s[0:1], -v[199:200]
	v_fma_f64 v[100:101], v[159:160], s[0:1], v[199:200]
	v_mul_f64 v[199:200], v[116:117], s[30:31]
	v_add_f64 v[90:91], v[213:214], v[90:91]
	v_fma_f64 v[213:214], v[149:150], s[18:19], v[96:97]
	v_fma_f64 v[96:97], v[149:150], s[18:19], -v[96:97]
	v_add_f64 v[94:95], v[100:101], v[94:95]
	v_add_f64 v[88:89], v[213:214], v[88:89]
	;; [unrolled: 1-line block ×3, first 2 shown]
	v_fma_f64 v[96:97], v[155:156], s[18:19], v[98:99]
	v_fma_f64 v[213:214], v[155:156], s[18:19], -v[98:99]
	v_fma_f64 v[98:99], v[124:125], s[8:9], v[217:218]
	v_add_f64 v[96:97], v[96:97], v[94:95]
	v_fma_f64 v[94:95], v[128:129], s[8:9], -v[215:216]
	v_add_f64 v[213:214], v[213:214], v[90:91]
	v_fma_f64 v[90:91], v[128:129], s[8:9], v[215:216]
	v_mul_f64 v[215:216], v[153:154], s[24:25]
	v_add_f64 v[94:95], v[94:95], v[92:93]
	v_add_f64 v[92:93], v[98:99], v[96:97]
	v_fma_f64 v[96:97], v[165:166], s[16:17], -v[179:180]
	v_fma_f64 v[98:99], v[167:168], s[16:17], v[181:182]
	v_add_f64 v[90:91], v[90:91], v[88:89]
	v_fma_f64 v[88:89], v[124:125], s[8:9], -v[217:218]
	v_mul_f64 v[217:218], v[151:152], s[28:29]
	v_mul_f64 v[151:152], v[151:152], s[20:21]
	v_add_f64 v[96:97], v[96:97], v[189:190]
	v_mul_f64 v[189:190], v[104:105], s[22:23]
	v_add_f64 v[98:99], v[98:99], v[207:208]
	;; [unrolled: 2-line block ×3, first 2 shown]
	v_mul_f64 v[213:214], v[147:148], s[24:25]
	v_fma_f64 v[100:101], v[161:162], s[10:11], -v[189:190]
	v_add_f64 v[96:97], v[100:101], v[96:97]
	v_fma_f64 v[100:101], v[163:164], s[10:11], v[191:192]
	v_add_f64 v[98:99], v[100:101], v[98:99]
	v_fma_f64 v[100:101], v[157:158], s[8:9], -v[199:200]
	v_add_f64 v[96:97], v[100:101], v[96:97]
	v_fma_f64 v[100:101], v[159:160], s[8:9], v[207:208]
	v_add_f64 v[98:99], v[100:101], v[98:99]
	;; [unrolled: 4-line block ×4, first 2 shown]
	v_fma_f64 v[100:101], v[165:166], s[8:9], -v[221:222]
	v_add_f64 v[100:101], v[100:101], v[187:188]
	v_mul_f64 v[187:188], v[110:111], s[30:31]
	s_mov_b32 s31, 0x3fedeba7
	v_fma_f64 v[102:103], v[167:168], s[8:9], v[187:188]
	v_add_f64 v[102:103], v[102:103], v[205:206]
	v_mul_f64 v[205:206], v[104:105], s[28:29]
	v_fma_f64 v[223:224], v[161:162], s[0:1], -v[205:206]
	v_add_f64 v[100:101], v[223:224], v[100:101]
	v_mul_f64 v[223:224], v[106:107], s[28:29]
	v_fma_f64 v[225:226], v[163:164], s[0:1], v[223:224]
	v_add_f64 v[102:103], v[225:226], v[102:103]
	v_mul_f64 v[225:226], v[116:117], s[38:39]
	v_mul_f64 v[116:117], v[116:117], s[22:23]
	v_fma_f64 v[227:228], v[157:158], s[2:3], -v[225:226]
	v_add_f64 v[100:101], v[227:228], v[100:101]
	v_mul_f64 v[227:228], v[118:119], s[38:39]
	v_mul_f64 v[118:119], v[118:119], s[22:23]
	v_fma_f64 v[229:230], v[159:160], s[2:3], v[227:228]
	v_add_f64 v[102:103], v[229:230], v[102:103]
	v_mul_f64 v[229:230], v[147:148], s[34:35]
	v_fma_f64 v[231:232], v[149:150], s[10:11], -v[229:230]
	v_add_f64 v[100:101], v[231:232], v[100:101]
	v_mul_f64 v[231:232], v[153:154], s[34:35]
	v_fma_f64 v[233:234], v[155:156], s[10:11], v[231:232]
	v_add_f64 v[233:234], v[233:234], v[102:103]
	v_fma_f64 v[102:103], v[128:129], s[18:19], -v[169:170]
	v_add_f64 v[102:103], v[102:103], v[100:101]
	v_fma_f64 v[100:101], v[124:125], s[18:19], v[171:172]
	v_add_f64 v[100:101], v[100:101], v[233:234]
	v_mul_f64 v[233:234], v[108:109], s[28:29]
	v_fma_f64 v[235:236], v[165:166], s[0:1], -v[233:234]
	v_add_f64 v[175:176], v[235:236], v[175:176]
	v_mul_f64 v[235:236], v[104:105], s[30:31]
	v_fma_f64 v[104:105], v[161:162], s[8:9], -v[235:236]
	v_add_f64 v[104:105], v[104:105], v[175:176]
	v_fma_f64 v[175:176], v[157:158], s[18:19], -v[120:121]
	v_fma_f64 v[120:121], v[157:158], s[18:19], v[120:121]
	v_add_f64 v[104:105], v[175:176], v[104:105]
	v_mul_f64 v[175:176], v[110:111], s[28:29]
	v_fma_f64 v[237:238], v[167:168], s[0:1], v[175:176]
	v_add_f64 v[195:196], v[237:238], v[195:196]
	v_mul_f64 v[237:238], v[106:107], s[30:31]
	v_fma_f64 v[106:107], v[163:164], s[8:9], v[237:238]
	v_add_f64 v[106:107], v[106:107], v[195:196]
	v_fma_f64 v[195:196], v[159:160], s[18:19], v[122:123]
	v_add_f64 v[106:107], v[195:196], v[106:107]
	v_mul_f64 v[195:196], v[147:148], s[26:27]
	v_mul_f64 v[147:148], v[147:148], s[36:37]
	v_fma_f64 v[239:240], v[149:150], s[16:17], -v[195:196]
	v_add_f64 v[104:105], v[239:240], v[104:105]
	v_mul_f64 v[239:240], v[153:154], s[26:27]
	v_mul_f64 v[153:154], v[153:154], s[36:37]
	v_fma_f64 v[241:242], v[155:156], s[16:17], v[239:240]
	v_add_f64 v[241:242], v[241:242], v[106:107]
	v_fma_f64 v[106:107], v[128:129], s[2:3], -v[243:244]
	v_add_f64 v[106:107], v[106:107], v[104:105]
	v_fma_f64 v[104:105], v[124:125], s[2:3], v[245:246]
	v_add_f64 v[104:105], v[104:105], v[241:242]
	v_mul_f64 v[241:242], v[108:109], s[38:39]
	v_fma_f64 v[108:109], v[165:166], s[2:3], -v[241:242]
	v_add_f64 v[108:109], v[108:109], v[173:174]
	v_mul_f64 v[173:174], v[110:111], s[38:39]
	v_fma_f64 v[110:111], v[167:168], s[2:3], v[173:174]
	v_fma_f64 v[173:174], v[167:168], s[2:3], -v[173:174]
	v_add_f64 v[110:111], v[110:111], v[193:194]
	v_fma_f64 v[193:194], v[161:162], s[18:19], -v[112:113]
	v_fma_f64 v[112:113], v[161:162], s[18:19], v[112:113]
	v_add_f64 v[173:174], v[173:174], v[201:202]
	v_add_f64 v[108:109], v[193:194], v[108:109]
	v_fma_f64 v[193:194], v[163:164], s[18:19], v[114:115]
	v_fma_f64 v[114:115], v[163:164], s[18:19], -v[114:115]
	v_add_f64 v[110:111], v[193:194], v[110:111]
	v_fma_f64 v[193:194], v[157:158], s[10:11], -v[116:117]
	v_fma_f64 v[116:117], v[157:158], s[10:11], v[116:117]
	v_add_f64 v[114:115], v[114:115], v[173:174]
	v_add_f64 v[108:109], v[193:194], v[108:109]
	v_fma_f64 v[193:194], v[159:160], s[10:11], v[118:119]
	v_add_f64 v[110:111], v[193:194], v[110:111]
	v_fma_f64 v[193:194], v[149:150], s[0:1], -v[147:148]
	v_add_f64 v[108:109], v[193:194], v[108:109]
	v_fma_f64 v[193:194], v[155:156], s[0:1], v[153:154]
	v_add_f64 v[193:194], v[193:194], v[110:111]
	v_fma_f64 v[110:111], v[128:129], s[16:17], -v[151:152]
	v_add_f64 v[110:111], v[110:111], v[108:109]
	v_fma_f64 v[108:109], v[124:125], s[16:17], v[126:127]
	v_add_f64 v[108:109], v[108:109], v[193:194]
	v_fma_f64 v[193:194], v[165:166], s[2:3], v[241:242]
	v_add_f64 v[183:184], v[193:194], v[183:184]
	v_add_f64 v[112:113], v[112:113], v[183:184]
	v_add_f64 v[112:113], v[116:117], v[112:113]
	v_fma_f64 v[116:117], v[159:160], s[10:11], -v[118:119]
	v_fma_f64 v[118:119], v[124:125], s[16:17], -v[126:127]
	v_fma_f64 v[126:127], v[161:162], s[8:9], v[235:236]
	v_add_f64 v[114:115], v[116:117], v[114:115]
	v_fma_f64 v[116:117], v[149:150], s[0:1], v[147:148]
	v_fma_f64 v[147:148], v[124:125], s[18:19], -v[171:172]
	v_add_f64 v[112:113], v[116:117], v[112:113]
	v_fma_f64 v[116:117], v[155:156], s[0:1], -v[153:154]
	v_fma_f64 v[153:154], v[163:164], s[10:11], -v[191:192]
	v_add_f64 v[116:117], v[116:117], v[114:115]
	v_fma_f64 v[114:115], v[128:129], s[16:17], v[151:152]
	v_fma_f64 v[151:152], v[161:162], s[10:11], v[189:190]
	v_add_f64 v[114:115], v[114:115], v[112:113]
	v_add_f64 v[112:113], v[118:119], v[116:117]
	v_fma_f64 v[116:117], v[165:166], s[0:1], v[233:234]
	v_fma_f64 v[118:119], v[167:168], s[0:1], -v[175:176]
	v_add_f64 v[116:117], v[116:117], v[185:186]
	v_add_f64 v[118:119], v[118:119], v[203:204]
	;; [unrolled: 1-line block ×3, first 2 shown]
	v_fma_f64 v[126:127], v[163:164], s[8:9], -v[237:238]
	v_add_f64 v[116:117], v[120:121], v[116:117]
	v_add_f64 v[118:119], v[126:127], v[118:119]
	v_fma_f64 v[120:121], v[159:160], s[18:19], -v[122:123]
	v_fma_f64 v[122:123], v[124:125], s[2:3], -v[245:246]
	v_fma_f64 v[126:127], v[161:162], s[0:1], v[205:206]
	v_fma_f64 v[124:125], v[124:125], s[0:1], -v[219:220]
	v_add_f64 v[118:119], v[120:121], v[118:119]
	v_fma_f64 v[120:121], v[149:150], s[16:17], v[195:196]
	v_add_f64 v[116:117], v[120:121], v[116:117]
	v_fma_f64 v[120:121], v[155:156], s[16:17], -v[239:240]
	v_add_f64 v[120:121], v[120:121], v[118:119]
	v_fma_f64 v[118:119], v[128:129], s[2:3], v[243:244]
	v_add_f64 v[118:119], v[118:119], v[116:117]
	v_add_f64 v[116:117], v[122:123], v[120:121]
	v_fma_f64 v[120:121], v[165:166], s[8:9], v[221:222]
	v_fma_f64 v[122:123], v[167:168], s[8:9], -v[187:188]
	v_add_f64 v[120:121], v[120:121], v[177:178]
	v_add_f64 v[122:123], v[122:123], v[197:198]
	;; [unrolled: 1-line block ×3, first 2 shown]
	v_fma_f64 v[126:127], v[163:164], s[0:1], -v[223:224]
	v_add_f64 v[122:123], v[126:127], v[122:123]
	v_fma_f64 v[126:127], v[157:158], s[2:3], v[225:226]
	v_fma_f64 v[157:158], v[157:158], s[8:9], v[199:200]
	v_add_f64 v[120:121], v[126:127], v[120:121]
	v_fma_f64 v[126:127], v[159:160], s[2:3], -v[227:228]
	v_add_f64 v[122:123], v[126:127], v[122:123]
	v_fma_f64 v[126:127], v[149:150], s[10:11], v[229:230]
	v_fma_f64 v[149:150], v[149:150], s[2:3], v[213:214]
	v_add_f64 v[120:121], v[126:127], v[120:121]
	;; [unrolled: 5-line block ×3, first 2 shown]
	v_add_f64 v[120:121], v[147:148], v[126:127]
	v_fma_f64 v[126:127], v[165:166], s[16:17], v[179:180]
	v_fma_f64 v[147:148], v[167:168], s[16:17], -v[181:182]
	v_add_f64 v[126:127], v[126:127], v[209:210]
	v_add_f64 v[147:148], v[147:148], v[211:212]
	;; [unrolled: 1-line block ×3, first 2 shown]
	v_fma_f64 v[151:152], v[159:160], s[8:9], -v[207:208]
	v_add_f64 v[147:148], v[153:154], v[147:148]
	v_fma_f64 v[153:154], v[155:156], s[2:3], -v[215:216]
	v_add_f64 v[126:127], v[157:158], v[126:127]
	v_add_f64 v[147:148], v[151:152], v[147:148]
	;; [unrolled: 1-line block ×5, first 2 shown]
	v_and_b32_e32 v128, 0xffff, v142
	v_add_f64 v[124:125], v[124:125], v[147:148]
	v_lshl_add_u32 v128, v128, 4, v141
	ds_write_b128 v128, v[0:3]
	ds_write_b128 v128, v[96:99] offset:16
	ds_write_b128 v128, v[100:103] offset:32
	;; [unrolled: 1-line block ×12, first 2 shown]
.LBB0_13:
	s_or_b32 exec_lo, exec_lo, s33
	s_waitcnt lgkmcnt(0)
	s_barrier
	buffer_gl0_inv
	ds_read_b128 v[0:3], v133 offset:1248
	ds_read_b128 v[80:83], v133 offset:2496
	;; [unrolled: 1-line block ×10, first 2 shown]
	ds_read_b128 v[116:119], v133
	ds_read_b128 v[120:123], v133 offset:416
	s_waitcnt lgkmcnt(0)
	s_barrier
	buffer_gl0_inv
	s_mov_b32 s0, 0xe8584caa
	s_mov_b32 s1, 0xbfebb67a
	;; [unrolled: 1-line block ×4, first 2 shown]
	v_mul_f64 v[124:125], v[26:27], v[2:3]
	v_mul_f64 v[26:27], v[26:27], v[0:1]
	;; [unrolled: 1-line block ×18, first 2 shown]
	v_fma_f64 v[0:1], v[24:25], v[0:1], v[124:125]
	v_fma_f64 v[2:3], v[24:25], v[2:3], -v[26:27]
	v_fma_f64 v[24:25], v[20:21], v[80:81], v[126:127]
	v_fma_f64 v[20:21], v[20:21], v[82:83], -v[22:23]
	;; [unrolled: 2-line block ×9, first 2 shown]
	v_add_f64 v[24:25], v[116:117], -v[24:25]
	v_add_f64 v[30:31], v[118:119], -v[20:21]
	;; [unrolled: 1-line block ×12, first 2 shown]
	v_fma_f64 v[34:35], v[116:117], 2.0, -v[24:25]
	v_fma_f64 v[36:37], v[118:119], 2.0, -v[30:31]
	v_fma_f64 v[8:9], v[0:1], 2.0, -v[20:21]
	v_fma_f64 v[10:11], v[2:3], 2.0, -v[16:17]
	v_add_f64 v[0:1], v[24:25], v[16:17]
	v_add_f64 v[2:3], v[30:31], -v[20:21]
	v_fma_f64 v[84:85], v[120:121], 2.0, -v[38:39]
	v_fma_f64 v[86:87], v[122:123], 2.0, -v[80:81]
	v_fma_f64 v[14:15], v[18:19], 2.0, -v[22:23]
	v_fma_f64 v[18:19], v[12:13], 2.0, -v[4:5]
	v_add_f64 v[4:5], v[38:39], v[4:5]
	v_fma_f64 v[90:91], v[112:113], 2.0, -v[82:83]
	v_fma_f64 v[92:93], v[114:115], 2.0, -v[88:89]
	;; [unrolled: 1-line block ×4, first 2 shown]
	v_add_f64 v[6:7], v[80:81], -v[22:23]
	v_add_f64 v[16:17], v[82:83], v[28:29]
	v_add_f64 v[8:9], v[34:35], -v[8:9]
	v_add_f64 v[10:11], v[36:37], -v[10:11]
	v_fma_f64 v[24:25], v[24:25], 2.0, -v[0:1]
	v_add_f64 v[12:13], v[84:85], -v[14:15]
	v_add_f64 v[14:15], v[86:87], -v[18:19]
	;; [unrolled: 1-line block ×3, first 2 shown]
	v_fma_f64 v[28:29], v[38:39], 2.0, -v[4:5]
	v_add_f64 v[20:21], v[90:91], -v[94:95]
	v_add_f64 v[22:23], v[92:93], -v[26:27]
	v_fma_f64 v[26:27], v[30:31], 2.0, -v[2:3]
	v_fma_f64 v[30:31], v[80:81], 2.0, -v[6:7]
	;; [unrolled: 1-line block ×10, first 2 shown]
	ds_write_b128 v146, v[0:3] offset:624
	ds_write_b128 v146, v[24:27] offset:208
	;; [unrolled: 1-line block ×3, first 2 shown]
	ds_write_b128 v146, v[32:35]
	ds_write_b128 v145, v[36:39]
	ds_write_b128 v145, v[28:31] offset:208
	ds_write_b128 v145, v[12:15] offset:416
	;; [unrolled: 1-line block ×3, first 2 shown]
	ds_write_b128 v144, v[84:87]
	ds_write_b128 v144, v[80:83] offset:208
	ds_write_b128 v144, v[20:23] offset:416
	ds_write_b128 v144, v[16:19] offset:624
	s_waitcnt lgkmcnt(0)
	s_barrier
	buffer_gl0_inv
	ds_read_b128 v[0:3], v133 offset:1664
	ds_read_b128 v[4:7], v133 offset:3328
	ds_read_b128 v[8:11], v133 offset:2080
	ds_read_b128 v[12:15], v133 offset:3744
	ds_read_b128 v[16:19], v133 offset:2496
	ds_read_b128 v[20:23], v133 offset:4160
	ds_read_b128 v[24:27], v133 offset:2912
	ds_read_b128 v[28:31], v133 offset:4576
	s_waitcnt lgkmcnt(7)
	v_mul_f64 v[32:33], v[46:47], v[2:3]
	v_mul_f64 v[34:35], v[46:47], v[0:1]
	s_waitcnt lgkmcnt(6)
	v_mul_f64 v[36:37], v[42:43], v[6:7]
	v_mul_f64 v[38:39], v[42:43], v[4:5]
	s_waitcnt lgkmcnt(5)
	v_mul_f64 v[80:81], v[54:55], v[10:11]
	v_mul_f64 v[82:83], v[54:55], v[8:9]
	s_waitcnt lgkmcnt(4)
	v_mul_f64 v[84:85], v[50:51], v[14:15]
	v_mul_f64 v[86:87], v[50:51], v[12:13]
	s_waitcnt lgkmcnt(3)
	v_mul_f64 v[88:89], v[46:47], v[18:19]
	v_mul_f64 v[46:47], v[46:47], v[16:17]
	s_waitcnt lgkmcnt(2)
	v_mul_f64 v[90:91], v[42:43], v[22:23]
	v_mul_f64 v[42:43], v[42:43], v[20:21]
	s_waitcnt lgkmcnt(1)
	v_mul_f64 v[92:93], v[54:55], v[26:27]
	s_waitcnt lgkmcnt(0)
	v_mul_f64 v[94:95], v[50:51], v[30:31]
	v_mul_f64 v[54:55], v[54:55], v[24:25]
	;; [unrolled: 1-line block ×3, first 2 shown]
	v_fma_f64 v[32:33], v[44:45], v[0:1], v[32:33]
	v_fma_f64 v[34:35], v[44:45], v[2:3], -v[34:35]
	v_fma_f64 v[36:37], v[40:41], v[4:5], v[36:37]
	v_fma_f64 v[38:39], v[40:41], v[6:7], -v[38:39]
	;; [unrolled: 2-line block ×6, first 2 shown]
	v_fma_f64 v[24:25], v[52:53], v[24:25], v[92:93]
	v_fma_f64 v[28:29], v[48:49], v[28:29], v[94:95]
	v_fma_f64 v[26:27], v[52:53], v[26:27], -v[54:55]
	v_fma_f64 v[30:31], v[48:49], v[30:31], -v[50:51]
	ds_read_b128 v[0:3], v133
	ds_read_b128 v[4:7], v133 offset:416
	ds_read_b128 v[8:11], v133 offset:832
	;; [unrolled: 1-line block ×3, first 2 shown]
	s_waitcnt lgkmcnt(0)
	s_barrier
	buffer_gl0_inv
	v_add_f64 v[40:41], v[32:33], v[36:37]
	v_add_f64 v[42:43], v[34:35], v[38:39]
	v_add_f64 v[54:55], v[34:35], -v[38:39]
	v_add_f64 v[44:45], v[80:81], v[84:85]
	v_add_f64 v[46:47], v[82:83], v[86:87]
	;; [unrolled: 1-line block ×4, first 2 shown]
	v_add_f64 v[104:105], v[18:19], -v[22:23]
	v_add_f64 v[88:89], v[24:25], v[28:29]
	v_add_f64 v[50:51], v[0:1], v[32:33]
	;; [unrolled: 1-line block ×10, first 2 shown]
	v_add_f64 v[32:33], v[32:33], -v[36:37]
	v_fma_f64 v[40:41], v[40:41], -0.5, v[0:1]
	v_fma_f64 v[42:43], v[42:43], -0.5, v[2:3]
	v_add_f64 v[82:83], v[82:83], -v[86:87]
	v_add_f64 v[80:81], v[80:81], -v[84:85]
	v_fma_f64 v[44:45], v[44:45], -0.5, v[4:5]
	v_fma_f64 v[46:47], v[46:47], -0.5, v[6:7]
	v_add_f64 v[106:107], v[16:17], -v[20:21]
	;; [unrolled: 4-line block ×3, first 2 shown]
	v_fma_f64 v[88:89], v[88:89], -0.5, v[12:13]
	v_add_f64 v[0:1], v[50:51], v[36:37]
	v_fma_f64 v[50:51], v[90:91], -0.5, v[14:15]
	v_add_f64 v[2:3], v[34:35], v[38:39]
	v_add_f64 v[4:5], v[92:93], v[84:85]
	;; [unrolled: 1-line block ×7, first 2 shown]
	v_fma_f64 v[16:17], v[54:55], s[0:1], v[40:41]
	v_fma_f64 v[18:19], v[32:33], s[2:3], v[42:43]
	;; [unrolled: 1-line block ×16, first 2 shown]
	ds_write_b128 v133, v[0:3]
	ds_write_b128 v133, v[4:7] offset:416
	ds_write_b128 v133, v[8:11] offset:2496
	;; [unrolled: 1-line block ×11, first 2 shown]
	s_waitcnt lgkmcnt(0)
	s_barrier
	buffer_gl0_inv
	ds_read_b128 v[0:3], v133 offset:2496
	ds_read_b128 v[4:7], v133 offset:2912
	;; [unrolled: 1-line block ×6, first 2 shown]
	ds_read_b128 v[24:27], v133
	ds_read_b128 v[28:31], v133 offset:416
	ds_read_b128 v[32:35], v133 offset:832
	;; [unrolled: 1-line block ×3, first 2 shown]
	s_waitcnt lgkmcnt(9)
	v_mul_f64 v[40:41], v[58:59], v[2:3]
	v_mul_f64 v[42:43], v[58:59], v[0:1]
	s_waitcnt lgkmcnt(8)
	v_mul_f64 v[44:45], v[62:63], v[6:7]
	v_mul_f64 v[46:47], v[62:63], v[4:5]
	;; [unrolled: 3-line block ×6, first 2 shown]
	v_fma_f64 v[40:41], v[56:57], v[0:1], v[40:41]
	v_fma_f64 v[42:43], v[56:57], v[2:3], -v[42:43]
	v_fma_f64 v[44:45], v[60:61], v[4:5], v[44:45]
	v_fma_f64 v[46:47], v[60:61], v[6:7], -v[46:47]
	v_fma_f64 v[48:49], v[64:65], v[8:9], v[48:49]
	v_fma_f64 v[50:51], v[64:65], v[10:11], -v[50:51]
	v_fma_f64 v[52:53], v[76:77], v[12:13], v[52:53]
	v_fma_f64 v[54:55], v[76:77], v[14:15], -v[54:55]
	v_fma_f64 v[56:57], v[68:69], v[16:17], v[58:59]
	v_fma_f64 v[58:59], v[68:69], v[18:19], -v[62:63]
	v_fma_f64 v[60:61], v[72:73], v[20:21], v[66:67]
	ds_read_b128 v[0:3], v133 offset:1664
	ds_read_b128 v[4:7], v133 offset:2080
	v_fma_f64 v[62:63], v[72:73], v[22:23], -v[70:71]
	s_waitcnt lgkmcnt(5)
	v_add_f64 v[8:9], v[24:25], -v[40:41]
	v_add_f64 v[10:11], v[26:27], -v[42:43]
	s_waitcnt lgkmcnt(4)
	v_add_f64 v[12:13], v[28:29], -v[44:45]
	v_add_f64 v[14:15], v[30:31], -v[46:47]
	;; [unrolled: 3-line block ×6, first 2 shown]
	v_fma_f64 v[24:25], v[24:25], 2.0, -v[8:9]
	v_fma_f64 v[26:27], v[26:27], 2.0, -v[10:11]
	;; [unrolled: 1-line block ×12, first 2 shown]
	ds_write_b128 v143, v[8:11] offset:2496
	ds_write_b128 v143, v[12:15] offset:2912
	;; [unrolled: 1-line block ×4, first 2 shown]
	ds_write_b128 v143, v[24:27]
	ds_write_b128 v143, v[28:31] offset:416
	ds_write_b128 v143, v[32:35] offset:832
	;; [unrolled: 1-line block ×7, first 2 shown]
	s_waitcnt lgkmcnt(0)
	s_barrier
	buffer_gl0_inv
	s_and_b32 exec_lo, exec_lo, vcc_lo
	s_cbranch_execz .LBB0_15
; %bb.14:
	v_add_co_u32 v40, s0, s14, v140
	v_add_co_ci_u32_e64 v41, null, s15, 0, s0
	v_lshlrev_b32_e32 v24, 4, v136
	v_add_co_u32 v44, vcc_lo, 0x800, v40
	s_clause 0x4
	global_load_dwordx4 v[0:3], v140, s[14:15]
	global_load_dwordx4 v[4:7], v140, s[14:15] offset:384
	global_load_dwordx4 v[8:11], v140, s[14:15] offset:768
	;; [unrolled: 1-line block ×4, first 2 shown]
	v_lshlrev_b32_e32 v28, 4, v135
	v_add_co_ci_u32_e32 v45, vcc_lo, 0, v41, vcc_lo
	v_add_co_u32 v48, vcc_lo, 0x1000, v40
	s_clause 0x4
	global_load_dwordx4 v[20:23], v140, s[14:15] offset:1920
	global_load_dwordx4 v[24:27], v24, s[14:15]
	global_load_dwordx4 v[28:31], v28, s[14:15]
	global_load_dwordx4 v[32:35], v[44:45], off offset:256
	global_load_dwordx4 v[36:39], v[44:45], off offset:640
	v_add_co_ci_u32_e32 v49, vcc_lo, 0, v41, vcc_lo
	s_clause 0x2
	global_load_dwordx4 v[40:43], v[44:45], off offset:1408
	global_load_dwordx4 v[44:47], v[44:45], off offset:1792
	;; [unrolled: 1-line block ×3, first 2 shown]
	v_mad_u64_u32 v[60:61], null, s6, v132, 0
	v_mad_u64_u32 v[76:77], null, s4, v138, 0
	v_lshl_add_u32 v100, v139, 4, v134
	v_mad_u64_u32 v[104:105], null, s4, v137, 0
	v_mad_u64_u32 v[106:107], null, s4, v136, 0
	v_mov_b32_e32 v52, v61
	v_mov_b32_e32 v53, v77
	v_mad_u64_u32 v[108:109], null, s4, v135, 0
	v_mov_b32_e32 v92, v105
	s_mul_i32 s2, s5, 0x180
	v_mad_u64_u32 v[54:55], null, s7, v132, v[52:53]
	v_mov_b32_e32 v93, v107
	s_mul_hi_u32 s3, s4, 0x180
	v_mov_b32_e32 v105, v109
	s_mul_i32 s6, s4, 0x180
	s_add_i32 s3, s3, s2
	v_mad_u64_u32 v[118:119], null, s5, v137, v[92:93]
	v_mad_u64_u32 v[62:63], null, s5, v138, v[53:54]
	v_mov_b32_e32 v61, v54
	ds_read_b128 v[52:55], v143
	ds_read_b128 v[56:59], v100 offset:384
	v_mad_u64_u32 v[121:122], null, s5, v136, v[93:94]
	v_mad_u64_u32 v[122:123], null, s5, v135, v[105:106]
	v_mov_b32_e32 v77, v62
	v_lshlrev_b64 v[78:79], 4, v[60:61]
	ds_read_b128 v[60:63], v100 offset:768
	ds_read_b128 v[64:67], v100 offset:1152
	;; [unrolled: 1-line block ×4, first 2 shown]
	s_mul_i32 s8, s5, 0x300
	v_mov_b32_e32 v107, v121
	v_lshlrev_b64 v[84:85], 4, v[76:77]
	s_mov_b32 s0, 0x1a41a41a
	v_add_co_u32 v153, vcc_lo, s12, v78
	v_add_co_ci_u32_e32 v154, vcc_lo, s13, v79, vcc_lo
	ds_read_b128 v[76:79], v100 offset:2304
	ds_read_b128 v[80:83], v100 offset:2688
	v_add_co_u32 v110, vcc_lo, v153, v84
	v_add_co_ci_u32_e32 v111, vcc_lo, v154, v85, vcc_lo
	ds_read_b128 v[84:87], v100 offset:3072
	ds_read_b128 v[88:91], v100 offset:3456
	;; [unrolled: 1-line block ×5, first 2 shown]
	v_add_co_u32 v112, vcc_lo, v110, s6
	v_add_co_ci_u32_e32 v113, vcc_lo, s3, v111, vcc_lo
	v_mov_b32_e32 v105, v118
	v_add_co_u32 v114, vcc_lo, v112, s6
	v_add_co_ci_u32_e32 v115, vcc_lo, s3, v113, vcc_lo
	s_mov_b32 s1, 0x3f6a41a4
	v_add_co_u32 v116, vcc_lo, v114, s6
	v_add_co_ci_u32_e32 v117, vcc_lo, s3, v115, vcc_lo
	v_mov_b32_e32 v109, v122
	v_lshlrev_b64 v[104:105], 4, v[104:105]
	v_lshlrev_b64 v[106:107], 4, v[106:107]
	v_mad_u64_u32 v[119:120], null, 0x300, s4, v[116:117]
	v_lshlrev_b64 v[108:109], 4, v[108:109]
	v_add_nc_u32_e32 v120, s8, v120
	v_add_co_u32 v123, vcc_lo, v119, s6
	v_add_co_ci_u32_e32 v124, vcc_lo, s3, v120, vcc_lo
	v_add_co_u32 v121, vcc_lo, v123, s6
	v_add_co_ci_u32_e32 v122, vcc_lo, s3, v124, vcc_lo
	;; [unrolled: 2-line block ×3, first 2 shown]
	v_mad_u64_u32 v[125:126], null, 0x300, s4, v[121:122]
	v_add_co_u32 v106, vcc_lo, v153, v106
	v_add_co_ci_u32_e32 v107, vcc_lo, v154, v107, vcc_lo
	v_add_nc_u32_e32 v126, s8, v126
	s_waitcnt vmcnt(12) lgkmcnt(12)
	v_mul_f64 v[127:128], v[54:55], v[2:3]
	v_mul_f64 v[2:3], v[52:53], v[2:3]
	s_waitcnt vmcnt(11) lgkmcnt(11)
	v_mul_f64 v[129:130], v[58:59], v[6:7]
	v_mul_f64 v[6:7], v[56:57], v[6:7]
	;; [unrolled: 3-line block ×8, first 2 shown]
	s_waitcnt lgkmcnt(4)
	v_mul_f64 v[139:140], v[86:87], v[26:27]
	v_mul_f64 v[26:27], v[84:85], v[26:27]
	s_waitcnt vmcnt(2) lgkmcnt(3)
	v_mul_f64 v[147:148], v[90:91], v[42:43]
	v_mul_f64 v[42:43], v[88:89], v[42:43]
	s_waitcnt vmcnt(1) lgkmcnt(2)
	;; [unrolled: 3-line block ×3, first 2 shown]
	v_mul_f64 v[151:152], v[98:99], v[50:51]
	v_mul_f64 v[50:51], v[96:97], v[50:51]
	s_waitcnt lgkmcnt(0)
	v_mul_f64 v[141:142], v[102:103], v[30:31]
	v_mul_f64 v[30:31], v[100:101], v[30:31]
	v_fma_f64 v[52:53], v[52:53], v[0:1], v[127:128]
	v_fma_f64 v[2:3], v[0:1], v[54:55], -v[2:3]
	v_fma_f64 v[54:55], v[56:57], v[4:5], v[129:130]
	v_fma_f64 v[6:7], v[4:5], v[58:59], -v[6:7]
	;; [unrolled: 2-line block ×13, first 2 shown]
	v_mul_f64 v[0:1], v[52:53], s[0:1]
	v_mul_f64 v[2:3], v[2:3], s[0:1]
	v_mul_f64 v[4:5], v[54:55], s[0:1]
	v_mul_f64 v[6:7], v[6:7], s[0:1]
	v_mul_f64 v[8:9], v[56:57], s[0:1]
	v_mul_f64 v[10:11], v[10:11], s[0:1]
	v_mul_f64 v[12:13], v[58:59], s[0:1]
	v_mul_f64 v[14:15], v[14:15], s[0:1]
	v_mul_f64 v[16:17], v[60:61], s[0:1]
	v_mul_f64 v[18:19], v[18:19], s[0:1]
	v_mul_f64 v[20:21], v[62:63], s[0:1]
	v_mul_f64 v[22:23], v[22:23], s[0:1]
	v_mul_f64 v[32:33], v[68:69], s[0:1]
	v_mul_f64 v[34:35], v[34:35], s[0:1]
	v_mul_f64 v[36:37], v[70:71], s[0:1]
	v_mul_f64 v[38:39], v[38:39], s[0:1]
	v_mul_f64 v[24:25], v[64:65], s[0:1]
	v_mul_f64 v[26:27], v[26:27], s[0:1]
	v_mul_f64 v[40:41], v[72:73], s[0:1]
	v_mul_f64 v[42:43], v[42:43], s[0:1]
	v_mul_f64 v[44:45], v[74:75], s[0:1]
	v_mul_f64 v[46:47], v[46:47], s[0:1]
	v_mul_f64 v[48:49], v[76:77], s[0:1]
	v_mul_f64 v[50:51], v[50:51], s[0:1]
	v_mul_f64 v[28:29], v[66:67], s[0:1]
	v_mul_f64 v[30:31], v[30:31], s[0:1]
	v_add_co_u32 v52, vcc_lo, v125, s6
	v_add_co_ci_u32_e32 v53, vcc_lo, s3, v126, vcc_lo
	v_add_co_u32 v54, vcc_lo, v153, v108
	v_add_co_ci_u32_e32 v55, vcc_lo, v154, v109, vcc_lo
	;; [unrolled: 2-line block ×3, first 2 shown]
	global_store_dwordx4 v[110:111], v[0:3], off
	global_store_dwordx4 v[112:113], v[4:7], off
	;; [unrolled: 1-line block ×13, first 2 shown]
.LBB0_15:
	s_endpgm
	.section	.rodata,"a",@progbits
	.p2align	6, 0x0
	.amdhsa_kernel bluestein_single_back_len312_dim1_dp_op_CI_CI
		.amdhsa_group_segment_fixed_size 9984
		.amdhsa_private_segment_fixed_size 0
		.amdhsa_kernarg_size 104
		.amdhsa_user_sgpr_count 6
		.amdhsa_user_sgpr_private_segment_buffer 1
		.amdhsa_user_sgpr_dispatch_ptr 0
		.amdhsa_user_sgpr_queue_ptr 0
		.amdhsa_user_sgpr_kernarg_segment_ptr 1
		.amdhsa_user_sgpr_dispatch_id 0
		.amdhsa_user_sgpr_flat_scratch_init 0
		.amdhsa_user_sgpr_private_segment_size 0
		.amdhsa_wavefront_size32 1
		.amdhsa_uses_dynamic_stack 0
		.amdhsa_system_sgpr_private_segment_wavefront_offset 0
		.amdhsa_system_sgpr_workgroup_id_x 1
		.amdhsa_system_sgpr_workgroup_id_y 0
		.amdhsa_system_sgpr_workgroup_id_z 0
		.amdhsa_system_sgpr_workgroup_info 0
		.amdhsa_system_vgpr_workitem_id 0
		.amdhsa_next_free_vgpr 247
		.amdhsa_next_free_sgpr 46
		.amdhsa_reserve_vcc 1
		.amdhsa_reserve_flat_scratch 0
		.amdhsa_float_round_mode_32 0
		.amdhsa_float_round_mode_16_64 0
		.amdhsa_float_denorm_mode_32 3
		.amdhsa_float_denorm_mode_16_64 3
		.amdhsa_dx10_clamp 1
		.amdhsa_ieee_mode 1
		.amdhsa_fp16_overflow 0
		.amdhsa_workgroup_processor_mode 1
		.amdhsa_memory_ordered 1
		.amdhsa_forward_progress 0
		.amdhsa_shared_vgpr_count 0
		.amdhsa_exception_fp_ieee_invalid_op 0
		.amdhsa_exception_fp_denorm_src 0
		.amdhsa_exception_fp_ieee_div_zero 0
		.amdhsa_exception_fp_ieee_overflow 0
		.amdhsa_exception_fp_ieee_underflow 0
		.amdhsa_exception_fp_ieee_inexact 0
		.amdhsa_exception_int_div_zero 0
	.end_amdhsa_kernel
	.text
.Lfunc_end0:
	.size	bluestein_single_back_len312_dim1_dp_op_CI_CI, .Lfunc_end0-bluestein_single_back_len312_dim1_dp_op_CI_CI
                                        ; -- End function
	.section	.AMDGPU.csdata,"",@progbits
; Kernel info:
; codeLenInByte = 17172
; NumSgprs: 48
; NumVgprs: 247
; ScratchSize: 0
; MemoryBound: 0
; FloatMode: 240
; IeeeMode: 1
; LDSByteSize: 9984 bytes/workgroup (compile time only)
; SGPRBlocks: 5
; VGPRBlocks: 30
; NumSGPRsForWavesPerEU: 48
; NumVGPRsForWavesPerEU: 247
; Occupancy: 4
; WaveLimiterHint : 1
; COMPUTE_PGM_RSRC2:SCRATCH_EN: 0
; COMPUTE_PGM_RSRC2:USER_SGPR: 6
; COMPUTE_PGM_RSRC2:TRAP_HANDLER: 0
; COMPUTE_PGM_RSRC2:TGID_X_EN: 1
; COMPUTE_PGM_RSRC2:TGID_Y_EN: 0
; COMPUTE_PGM_RSRC2:TGID_Z_EN: 0
; COMPUTE_PGM_RSRC2:TIDIG_COMP_CNT: 0
	.text
	.p2alignl 6, 3214868480
	.fill 48, 4, 3214868480
	.type	__hip_cuid_b247c6aa9501d96f,@object ; @__hip_cuid_b247c6aa9501d96f
	.section	.bss,"aw",@nobits
	.globl	__hip_cuid_b247c6aa9501d96f
__hip_cuid_b247c6aa9501d96f:
	.byte	0                               ; 0x0
	.size	__hip_cuid_b247c6aa9501d96f, 1

	.ident	"AMD clang version 19.0.0git (https://github.com/RadeonOpenCompute/llvm-project roc-6.4.0 25133 c7fe45cf4b819c5991fe208aaa96edf142730f1d)"
	.section	".note.GNU-stack","",@progbits
	.addrsig
	.addrsig_sym __hip_cuid_b247c6aa9501d96f
	.amdgpu_metadata
---
amdhsa.kernels:
  - .args:
      - .actual_access:  read_only
        .address_space:  global
        .offset:         0
        .size:           8
        .value_kind:     global_buffer
      - .actual_access:  read_only
        .address_space:  global
        .offset:         8
        .size:           8
        .value_kind:     global_buffer
      - .actual_access:  read_only
        .address_space:  global
        .offset:         16
        .size:           8
        .value_kind:     global_buffer
      - .actual_access:  read_only
        .address_space:  global
        .offset:         24
        .size:           8
        .value_kind:     global_buffer
      - .actual_access:  read_only
        .address_space:  global
        .offset:         32
        .size:           8
        .value_kind:     global_buffer
      - .offset:         40
        .size:           8
        .value_kind:     by_value
      - .address_space:  global
        .offset:         48
        .size:           8
        .value_kind:     global_buffer
      - .address_space:  global
        .offset:         56
        .size:           8
        .value_kind:     global_buffer
      - .address_space:  global
        .offset:         64
        .size:           8
        .value_kind:     global_buffer
      - .address_space:  global
        .offset:         72
        .size:           8
        .value_kind:     global_buffer
      - .offset:         80
        .size:           4
        .value_kind:     by_value
      - .address_space:  global
        .offset:         88
        .size:           8
        .value_kind:     global_buffer
      - .address_space:  global
        .offset:         96
        .size:           8
        .value_kind:     global_buffer
    .group_segment_fixed_size: 9984
    .kernarg_segment_align: 8
    .kernarg_segment_size: 104
    .language:       OpenCL C
    .language_version:
      - 2
      - 0
    .max_flat_workgroup_size: 52
    .name:           bluestein_single_back_len312_dim1_dp_op_CI_CI
    .private_segment_fixed_size: 0
    .sgpr_count:     48
    .sgpr_spill_count: 0
    .symbol:         bluestein_single_back_len312_dim1_dp_op_CI_CI.kd
    .uniform_work_group_size: 1
    .uses_dynamic_stack: false
    .vgpr_count:     247
    .vgpr_spill_count: 0
    .wavefront_size: 32
    .workgroup_processor_mode: 1
amdhsa.target:   amdgcn-amd-amdhsa--gfx1030
amdhsa.version:
  - 1
  - 2
...

	.end_amdgpu_metadata
